;; amdgpu-corpus repo=ROCm/rocFFT kind=compiled arch=gfx906 opt=O3
	.text
	.amdgcn_target "amdgcn-amd-amdhsa--gfx906"
	.amdhsa_code_object_version 6
	.protected	fft_rtc_fwd_len1210_factors_2_5_11_11_wgs_110_tpt_110_halfLds_dp_op_CI_CI_unitstride_sbrr_C2R_dirReg ; -- Begin function fft_rtc_fwd_len1210_factors_2_5_11_11_wgs_110_tpt_110_halfLds_dp_op_CI_CI_unitstride_sbrr_C2R_dirReg
	.globl	fft_rtc_fwd_len1210_factors_2_5_11_11_wgs_110_tpt_110_halfLds_dp_op_CI_CI_unitstride_sbrr_C2R_dirReg
	.p2align	8
	.type	fft_rtc_fwd_len1210_factors_2_5_11_11_wgs_110_tpt_110_halfLds_dp_op_CI_CI_unitstride_sbrr_C2R_dirReg,@function
fft_rtc_fwd_len1210_factors_2_5_11_11_wgs_110_tpt_110_halfLds_dp_op_CI_CI_unitstride_sbrr_C2R_dirReg: ; @fft_rtc_fwd_len1210_factors_2_5_11_11_wgs_110_tpt_110_halfLds_dp_op_CI_CI_unitstride_sbrr_C2R_dirReg
; %bb.0:
	s_load_dwordx4 s[8:11], s[4:5], 0x58
	s_load_dwordx4 s[12:15], s[4:5], 0x0
	;; [unrolled: 1-line block ×3, first 2 shown]
	v_mul_u32_u24_e32 v1, 0x254, v0
	v_add_u32_sdwa v5, s6, v1 dst_sel:DWORD dst_unused:UNUSED_PAD src0_sel:DWORD src1_sel:WORD_1
	v_mov_b32_e32 v3, 0
	s_waitcnt lgkmcnt(0)
	v_cmp_lt_u64_e64 s[0:1], s[14:15], 2
	v_mov_b32_e32 v1, 0
	v_mov_b32_e32 v6, v3
	s_and_b64 vcc, exec, s[0:1]
	v_mov_b32_e32 v2, 0
	s_cbranch_vccnz .LBB0_8
; %bb.1:
	s_load_dwordx2 s[0:1], s[4:5], 0x10
	s_add_u32 s2, s18, 8
	s_addc_u32 s3, s19, 0
	s_add_u32 s6, s16, 8
	v_mov_b32_e32 v1, 0
	s_addc_u32 s7, s17, 0
	v_mov_b32_e32 v2, 0
	s_waitcnt lgkmcnt(0)
	s_add_u32 s20, s0, 8
	v_mov_b32_e32 v77, v2
	s_addc_u32 s21, s1, 0
	s_mov_b64 s[22:23], 1
	v_mov_b32_e32 v76, v1
.LBB0_2:                                ; =>This Inner Loop Header: Depth=1
	s_load_dwordx2 s[24:25], s[20:21], 0x0
                                        ; implicit-def: $vgpr78_vgpr79
	s_waitcnt lgkmcnt(0)
	v_or_b32_e32 v4, s25, v6
	v_cmp_ne_u64_e32 vcc, 0, v[3:4]
	s_and_saveexec_b64 s[0:1], vcc
	s_xor_b64 s[26:27], exec, s[0:1]
	s_cbranch_execz .LBB0_4
; %bb.3:                                ;   in Loop: Header=BB0_2 Depth=1
	v_cvt_f32_u32_e32 v4, s24
	v_cvt_f32_u32_e32 v7, s25
	s_sub_u32 s0, 0, s24
	s_subb_u32 s1, 0, s25
	v_mac_f32_e32 v4, 0x4f800000, v7
	v_rcp_f32_e32 v4, v4
	v_mul_f32_e32 v4, 0x5f7ffffc, v4
	v_mul_f32_e32 v7, 0x2f800000, v4
	v_trunc_f32_e32 v7, v7
	v_mac_f32_e32 v4, 0xcf800000, v7
	v_cvt_u32_f32_e32 v7, v7
	v_cvt_u32_f32_e32 v4, v4
	v_mul_lo_u32 v8, s0, v7
	v_mul_hi_u32 v9, s0, v4
	v_mul_lo_u32 v11, s1, v4
	v_mul_lo_u32 v10, s0, v4
	v_add_u32_e32 v8, v9, v8
	v_add_u32_e32 v8, v8, v11
	v_mul_hi_u32 v9, v4, v10
	v_mul_lo_u32 v11, v4, v8
	v_mul_hi_u32 v13, v4, v8
	v_mul_hi_u32 v12, v7, v10
	v_mul_lo_u32 v10, v7, v10
	v_mul_hi_u32 v14, v7, v8
	v_add_co_u32_e32 v9, vcc, v9, v11
	v_addc_co_u32_e32 v11, vcc, 0, v13, vcc
	v_mul_lo_u32 v8, v7, v8
	v_add_co_u32_e32 v9, vcc, v9, v10
	v_addc_co_u32_e32 v9, vcc, v11, v12, vcc
	v_addc_co_u32_e32 v10, vcc, 0, v14, vcc
	v_add_co_u32_e32 v8, vcc, v9, v8
	v_addc_co_u32_e32 v9, vcc, 0, v10, vcc
	v_add_co_u32_e32 v4, vcc, v4, v8
	v_addc_co_u32_e32 v7, vcc, v7, v9, vcc
	v_mul_lo_u32 v8, s0, v7
	v_mul_hi_u32 v9, s0, v4
	v_mul_lo_u32 v10, s1, v4
	v_mul_lo_u32 v11, s0, v4
	v_add_u32_e32 v8, v9, v8
	v_add_u32_e32 v8, v8, v10
	v_mul_lo_u32 v12, v4, v8
	v_mul_hi_u32 v13, v4, v11
	v_mul_hi_u32 v14, v4, v8
	v_mul_hi_u32 v10, v7, v11
	v_mul_lo_u32 v11, v7, v11
	v_mul_hi_u32 v9, v7, v8
	v_add_co_u32_e32 v12, vcc, v13, v12
	v_addc_co_u32_e32 v13, vcc, 0, v14, vcc
	v_mul_lo_u32 v8, v7, v8
	v_add_co_u32_e32 v11, vcc, v12, v11
	v_addc_co_u32_e32 v10, vcc, v13, v10, vcc
	v_addc_co_u32_e32 v9, vcc, 0, v9, vcc
	v_add_co_u32_e32 v8, vcc, v10, v8
	v_addc_co_u32_e32 v9, vcc, 0, v9, vcc
	v_add_co_u32_e32 v4, vcc, v4, v8
	v_addc_co_u32_e32 v9, vcc, v7, v9, vcc
	v_mad_u64_u32 v[7:8], s[0:1], v5, v9, 0
	v_mul_hi_u32 v10, v5, v4
	v_add_co_u32_e32 v11, vcc, v10, v7
	v_addc_co_u32_e32 v12, vcc, 0, v8, vcc
	v_mad_u64_u32 v[7:8], s[0:1], v6, v4, 0
	v_mad_u64_u32 v[9:10], s[0:1], v6, v9, 0
	v_add_co_u32_e32 v4, vcc, v11, v7
	v_addc_co_u32_e32 v4, vcc, v12, v8, vcc
	v_addc_co_u32_e32 v7, vcc, 0, v10, vcc
	v_add_co_u32_e32 v4, vcc, v4, v9
	v_addc_co_u32_e32 v9, vcc, 0, v7, vcc
	v_mul_lo_u32 v10, s25, v4
	v_mul_lo_u32 v11, s24, v9
	v_mad_u64_u32 v[7:8], s[0:1], s24, v4, 0
	v_add3_u32 v8, v8, v11, v10
	v_sub_u32_e32 v10, v6, v8
	v_mov_b32_e32 v11, s25
	v_sub_co_u32_e32 v7, vcc, v5, v7
	v_subb_co_u32_e64 v10, s[0:1], v10, v11, vcc
	v_subrev_co_u32_e64 v11, s[0:1], s24, v7
	v_subbrev_co_u32_e64 v10, s[0:1], 0, v10, s[0:1]
	v_cmp_le_u32_e64 s[0:1], s25, v10
	v_cndmask_b32_e64 v12, 0, -1, s[0:1]
	v_cmp_le_u32_e64 s[0:1], s24, v11
	v_cndmask_b32_e64 v11, 0, -1, s[0:1]
	v_cmp_eq_u32_e64 s[0:1], s25, v10
	v_cndmask_b32_e64 v10, v12, v11, s[0:1]
	v_add_co_u32_e64 v11, s[0:1], 2, v4
	v_addc_co_u32_e64 v12, s[0:1], 0, v9, s[0:1]
	v_add_co_u32_e64 v13, s[0:1], 1, v4
	v_addc_co_u32_e64 v14, s[0:1], 0, v9, s[0:1]
	v_subb_co_u32_e32 v8, vcc, v6, v8, vcc
	v_cmp_ne_u32_e64 s[0:1], 0, v10
	v_cmp_le_u32_e32 vcc, s25, v8
	v_cndmask_b32_e64 v10, v14, v12, s[0:1]
	v_cndmask_b32_e64 v12, 0, -1, vcc
	v_cmp_le_u32_e32 vcc, s24, v7
	v_cndmask_b32_e64 v7, 0, -1, vcc
	v_cmp_eq_u32_e32 vcc, s25, v8
	v_cndmask_b32_e32 v7, v12, v7, vcc
	v_cmp_ne_u32_e32 vcc, 0, v7
	v_cndmask_b32_e64 v7, v13, v11, s[0:1]
	v_cndmask_b32_e32 v79, v9, v10, vcc
	v_cndmask_b32_e32 v78, v4, v7, vcc
.LBB0_4:                                ;   in Loop: Header=BB0_2 Depth=1
	s_andn2_saveexec_b64 s[0:1], s[26:27]
	s_cbranch_execz .LBB0_6
; %bb.5:                                ;   in Loop: Header=BB0_2 Depth=1
	v_cvt_f32_u32_e32 v4, s24
	s_sub_i32 s26, 0, s24
	v_mov_b32_e32 v79, v3
	v_rcp_iflag_f32_e32 v4, v4
	v_mul_f32_e32 v4, 0x4f7ffffe, v4
	v_cvt_u32_f32_e32 v4, v4
	v_mul_lo_u32 v7, s26, v4
	v_mul_hi_u32 v7, v4, v7
	v_add_u32_e32 v4, v4, v7
	v_mul_hi_u32 v4, v5, v4
	v_mul_lo_u32 v7, v4, s24
	v_add_u32_e32 v8, 1, v4
	v_sub_u32_e32 v7, v5, v7
	v_subrev_u32_e32 v9, s24, v7
	v_cmp_le_u32_e32 vcc, s24, v7
	v_cndmask_b32_e32 v7, v7, v9, vcc
	v_cndmask_b32_e32 v4, v4, v8, vcc
	v_add_u32_e32 v8, 1, v4
	v_cmp_le_u32_e32 vcc, s24, v7
	v_cndmask_b32_e32 v78, v4, v8, vcc
.LBB0_6:                                ;   in Loop: Header=BB0_2 Depth=1
	s_or_b64 exec, exec, s[0:1]
	v_mul_lo_u32 v4, v79, s24
	v_mul_lo_u32 v9, v78, s25
	v_mad_u64_u32 v[7:8], s[0:1], v78, s24, 0
	s_load_dwordx2 s[0:1], s[6:7], 0x0
	s_load_dwordx2 s[24:25], s[2:3], 0x0
	v_add3_u32 v4, v8, v9, v4
	v_sub_co_u32_e32 v5, vcc, v5, v7
	v_subb_co_u32_e32 v4, vcc, v6, v4, vcc
	s_waitcnt lgkmcnt(0)
	v_mul_lo_u32 v6, s0, v4
	v_mul_lo_u32 v7, s1, v5
	v_mad_u64_u32 v[1:2], s[0:1], s0, v5, v[1:2]
	v_mul_lo_u32 v4, s24, v4
	v_mul_lo_u32 v8, s25, v5
	v_mad_u64_u32 v[76:77], s[0:1], s24, v5, v[76:77]
	s_add_u32 s22, s22, 1
	s_addc_u32 s23, s23, 0
	s_add_u32 s2, s2, 8
	v_add3_u32 v77, v8, v77, v4
	s_addc_u32 s3, s3, 0
	v_mov_b32_e32 v4, s14
	s_add_u32 s6, s6, 8
	v_mov_b32_e32 v5, s15
	s_addc_u32 s7, s7, 0
	v_cmp_ge_u64_e32 vcc, s[22:23], v[4:5]
	s_add_u32 s20, s20, 8
	v_add3_u32 v2, v7, v2, v6
	s_addc_u32 s21, s21, 0
	s_cbranch_vccnz .LBB0_9
; %bb.7:                                ;   in Loop: Header=BB0_2 Depth=1
	v_mov_b32_e32 v5, v78
	v_mov_b32_e32 v6, v79
	s_branch .LBB0_2
.LBB0_8:
	v_mov_b32_e32 v77, v2
	v_mov_b32_e32 v79, v6
	;; [unrolled: 1-line block ×4, first 2 shown]
.LBB0_9:
	s_load_dwordx2 s[2:3], s[4:5], 0x28
	s_lshl_b64 s[6:7], s[14:15], 3
	s_add_u32 s4, s18, s6
	s_addc_u32 s5, s19, s7
                                        ; implicit-def: $vgpr80
	s_waitcnt lgkmcnt(0)
	v_cmp_gt_u64_e64 s[0:1], s[2:3], v[78:79]
	v_cmp_le_u64_e32 vcc, s[2:3], v[78:79]
	s_and_saveexec_b64 s[2:3], vcc
	s_xor_b64 s[2:3], exec, s[2:3]
; %bb.10:
	s_mov_b32 s14, 0x253c826
	v_mul_hi_u32 v1, v0, s14
	v_mul_u32_u24_e32 v1, 0x6e, v1
	v_sub_u32_e32 v80, v0, v1
                                        ; implicit-def: $vgpr0
                                        ; implicit-def: $vgpr1_vgpr2
; %bb.11:
	s_or_saveexec_b64 s[2:3], s[2:3]
	s_load_dwordx2 s[4:5], s[4:5], 0x0
	s_xor_b64 exec, exec, s[2:3]
	s_cbranch_execz .LBB0_15
; %bb.12:
	s_add_u32 s6, s16, s6
	s_addc_u32 s7, s17, s7
	s_load_dwordx2 s[6:7], s[6:7], 0x0
	s_mov_b32 s14, 0x253c826
	v_mul_hi_u32 v5, v0, s14
	v_lshlrev_b64 v[1:2], 4, v[1:2]
	s_waitcnt lgkmcnt(0)
	v_mul_lo_u32 v6, s7, v78
	v_mul_lo_u32 v7, s6, v79
	v_mad_u64_u32 v[3:4], s[6:7], s6, v78, 0
	v_mul_u32_u24_e32 v5, 0x6e, v5
	v_sub_u32_e32 v80, v0, v5
	v_add3_u32 v4, v4, v7, v6
	v_lshlrev_b64 v[3:4], 4, v[3:4]
	v_mov_b32_e32 v0, s9
	v_add_co_u32_e32 v3, vcc, s8, v3
	v_addc_co_u32_e32 v0, vcc, v0, v4, vcc
	v_add_co_u32_e32 v1, vcc, v3, v1
	v_addc_co_u32_e32 v0, vcc, v0, v2, vcc
	v_lshlrev_b32_e32 v49, 4, v80
	v_add_co_u32_e32 v41, vcc, v1, v49
	v_addc_co_u32_e32 v42, vcc, 0, v0, vcc
	s_movk_i32 s6, 0x1000
	v_add_co_u32_e32 v26, vcc, s6, v41
	s_movk_i32 s7, 0x2000
	v_addc_co_u32_e32 v27, vcc, 0, v42, vcc
	v_add_co_u32_e32 v43, vcc, s7, v41
	v_addc_co_u32_e32 v44, vcc, 0, v42, vcc
	s_movk_i32 s6, 0x3000
	v_add_co_u32_e32 v45, vcc, s6, v41
	v_addc_co_u32_e32 v46, vcc, 0, v42, vcc
	global_load_dwordx4 v[2:5], v[41:42], off
	global_load_dwordx4 v[6:9], v[41:42], off offset:1760
	global_load_dwordx4 v[10:13], v[41:42], off offset:3520
	;; [unrolled: 1-line block ×5, first 2 shown]
	v_add_co_u32_e32 v47, vcc, 0x4000, v41
	global_load_dwordx4 v[26:29], v[43:44], off offset:2368
	global_load_dwordx4 v[30:33], v[45:46], off offset:32
	;; [unrolled: 1-line block ×4, first 2 shown]
	v_addc_co_u32_e32 v48, vcc, 0, v42, vcc
	global_load_dwordx4 v[42:45], v[47:48], off offset:1216
	s_movk_i32 s6, 0x6d
	v_add_u32_e32 v46, 0, v49
	v_cmp_eq_u32_e32 vcc, s6, v80
	s_waitcnt vmcnt(10)
	ds_write_b128 v46, v[2:5]
	s_waitcnt vmcnt(9)
	ds_write_b128 v46, v[6:9] offset:1760
	s_waitcnt vmcnt(8)
	ds_write_b128 v46, v[10:13] offset:3520
	;; [unrolled: 2-line block ×10, first 2 shown]
	s_and_saveexec_b64 s[6:7], vcc
	s_cbranch_execz .LBB0_14
; %bb.13:
	v_add_co_u32_e32 v1, vcc, 0x4000, v1
	v_addc_co_u32_e32 v2, vcc, 0, v0, vcc
	global_load_dwordx4 v[0:3], v[1:2], off offset:2976
	v_mov_b32_e32 v4, 0
	v_mov_b32_e32 v80, 0x6d
	s_waitcnt vmcnt(0)
	ds_write_b128 v4, v[0:3] offset:19360
.LBB0_14:
	s_or_b64 exec, exec, s[6:7]
.LBB0_15:
	s_or_b64 exec, exec, s[2:3]
	v_lshlrev_b32_e32 v0, 4, v80
	v_add_u32_e32 v82, 0, v0
	s_waitcnt lgkmcnt(0)
	s_barrier
	v_sub_u32_e32 v10, 0, v0
	ds_read_b64 v[6:7], v82
	ds_read_b64 v[8:9], v10 offset:19360
	s_add_u32 s6, s12, 0x4b80
	s_addc_u32 s7, s13, 0
	v_cmp_ne_u32_e32 vcc, 0, v80
                                        ; implicit-def: $vgpr4_vgpr5
	s_waitcnt lgkmcnt(0)
	v_add_f64 v[0:1], v[6:7], v[8:9]
	v_add_f64 v[2:3], v[6:7], -v[8:9]
	s_and_saveexec_b64 s[2:3], vcc
	s_xor_b64 s[2:3], exec, s[2:3]
	s_cbranch_execz .LBB0_17
; %bb.16:
	v_mov_b32_e32 v81, 0
	v_lshlrev_b64 v[0:1], 4, v[80:81]
	v_mov_b32_e32 v2, s7
	v_add_co_u32_e32 v0, vcc, s6, v0
	v_addc_co_u32_e32 v1, vcc, v2, v1, vcc
	global_load_dwordx4 v[2:5], v[0:1], off
	ds_read_b64 v[0:1], v10 offset:19368
	ds_read_b64 v[11:12], v82 offset:8
	v_add_f64 v[13:14], v[6:7], v[8:9]
	v_add_f64 v[8:9], v[6:7], -v[8:9]
	s_waitcnt lgkmcnt(0)
	v_add_f64 v[15:16], v[0:1], v[11:12]
	v_add_f64 v[0:1], v[11:12], -v[0:1]
	s_waitcnt vmcnt(0)
	v_fma_f64 v[6:7], -v[8:9], v[4:5], v[13:14]
	v_fma_f64 v[11:12], v[15:16], v[4:5], -v[0:1]
	v_fma_f64 v[13:14], v[8:9], v[4:5], v[13:14]
	v_fma_f64 v[17:18], v[15:16], v[4:5], v[0:1]
	;; [unrolled: 1-line block ×4, first 2 shown]
	v_fma_f64 v[0:1], -v[15:16], v[2:3], v[13:14]
	v_fma_f64 v[2:3], v[8:9], v[2:3], v[17:18]
	ds_write_b128 v10, v[4:7] offset:19360
	v_mov_b32_e32 v4, v80
	v_mov_b32_e32 v5, v81
.LBB0_17:
	s_andn2_saveexec_b64 s[2:3], s[2:3]
	s_cbranch_execz .LBB0_19
; %bb.18:
	v_mov_b32_e32 v8, 0
	ds_read_b128 v[4:7], v8 offset:9680
	s_waitcnt lgkmcnt(0)
	v_add_f64 v[11:12], v[4:5], v[4:5]
	v_mul_f64 v[13:14], v[6:7], -2.0
	v_mov_b32_e32 v4, 0
	v_mov_b32_e32 v5, 0
	ds_write_b128 v8, v[11:14] offset:9680
.LBB0_19:
	s_or_b64 exec, exec, s[2:3]
	v_lshlrev_b64 v[4:5], 4, v[4:5]
	v_mov_b32_e32 v6, s7
	v_add_co_u32_e32 v4, vcc, s6, v4
	v_addc_co_u32_e32 v5, vcc, v6, v5, vcc
	global_load_dwordx4 v[6:9], v[4:5], off offset:1760
	global_load_dwordx4 v[11:14], v[4:5], off offset:3520
	s_movk_i32 s2, 0x1000
	v_add_co_u32_e32 v23, vcc, s2, v4
	ds_write_b128 v82, v[0:3]
	v_addc_co_u32_e32 v24, vcc, 0, v5, vcc
	ds_read_b128 v[0:3], v82 offset:1760
	ds_read_b128 v[15:18], v10 offset:17600
	global_load_dwordx4 v[19:22], v[23:24], off offset:1184
	v_cmp_gt_u32_e32 vcc, 55, v80
	s_waitcnt lgkmcnt(0)
	v_add_f64 v[25:26], v[0:1], v[15:16]
	v_add_f64 v[27:28], v[17:18], v[2:3]
	v_add_f64 v[29:30], v[0:1], -v[15:16]
	v_add_f64 v[0:1], v[2:3], -v[17:18]
	s_waitcnt vmcnt(2)
	v_fma_f64 v[2:3], v[29:30], v[8:9], v[25:26]
	v_fma_f64 v[15:16], v[27:28], v[8:9], v[0:1]
	v_fma_f64 v[17:18], -v[29:30], v[8:9], v[25:26]
	v_fma_f64 v[8:9], v[27:28], v[8:9], -v[0:1]
	v_fma_f64 v[0:1], -v[27:28], v[6:7], v[2:3]
	v_fma_f64 v[2:3], v[29:30], v[6:7], v[15:16]
	v_fma_f64 v[15:16], v[27:28], v[6:7], v[17:18]
	;; [unrolled: 1-line block ×3, first 2 shown]
	ds_write_b128 v82, v[0:3] offset:1760
	ds_write_b128 v10, v[15:18] offset:17600
	ds_read_b128 v[0:3], v82 offset:3520
	ds_read_b128 v[6:9], v10 offset:15840
	global_load_dwordx4 v[15:18], v[23:24], off offset:2944
	s_waitcnt lgkmcnt(0)
	v_add_f64 v[23:24], v[0:1], v[6:7]
	v_add_f64 v[25:26], v[8:9], v[2:3]
	v_add_f64 v[27:28], v[0:1], -v[6:7]
	v_add_f64 v[0:1], v[2:3], -v[8:9]
	s_waitcnt vmcnt(2)
	v_fma_f64 v[2:3], v[27:28], v[13:14], v[23:24]
	v_fma_f64 v[6:7], v[25:26], v[13:14], v[0:1]
	v_fma_f64 v[8:9], -v[27:28], v[13:14], v[23:24]
	v_fma_f64 v[13:14], v[25:26], v[13:14], -v[0:1]
	v_fma_f64 v[0:1], -v[25:26], v[11:12], v[2:3]
	v_fma_f64 v[2:3], v[27:28], v[11:12], v[6:7]
	v_fma_f64 v[6:7], v[25:26], v[11:12], v[8:9]
	;; [unrolled: 1-line block ×3, first 2 shown]
	ds_write_b128 v82, v[0:3] offset:3520
	ds_write_b128 v10, v[6:9] offset:15840
	ds_read_b128 v[0:3], v82 offset:5280
	ds_read_b128 v[6:9], v10 offset:14080
	s_waitcnt lgkmcnt(0)
	v_add_f64 v[11:12], v[0:1], v[6:7]
	v_add_f64 v[13:14], v[8:9], v[2:3]
	v_add_f64 v[23:24], v[0:1], -v[6:7]
	v_add_f64 v[0:1], v[2:3], -v[8:9]
	s_waitcnt vmcnt(1)
	v_fma_f64 v[2:3], v[23:24], v[21:22], v[11:12]
	v_fma_f64 v[6:7], v[13:14], v[21:22], v[0:1]
	v_fma_f64 v[8:9], -v[23:24], v[21:22], v[11:12]
	v_fma_f64 v[11:12], v[13:14], v[21:22], -v[0:1]
	v_fma_f64 v[0:1], -v[13:14], v[19:20], v[2:3]
	v_fma_f64 v[2:3], v[23:24], v[19:20], v[6:7]
	v_fma_f64 v[6:7], v[13:14], v[19:20], v[8:9]
	;; [unrolled: 1-line block ×3, first 2 shown]
	ds_write_b128 v82, v[0:3] offset:5280
	ds_write_b128 v10, v[6:9] offset:14080
	ds_read_b128 v[0:3], v82 offset:7040
	ds_read_b128 v[6:9], v10 offset:12320
	s_waitcnt lgkmcnt(0)
	v_add_f64 v[11:12], v[0:1], v[6:7]
	v_add_f64 v[13:14], v[8:9], v[2:3]
	v_add_f64 v[19:20], v[0:1], -v[6:7]
	v_add_f64 v[0:1], v[2:3], -v[8:9]
	s_waitcnt vmcnt(0)
	v_fma_f64 v[2:3], v[19:20], v[17:18], v[11:12]
	v_fma_f64 v[6:7], v[13:14], v[17:18], v[0:1]
	v_fma_f64 v[8:9], -v[19:20], v[17:18], v[11:12]
	v_fma_f64 v[11:12], v[13:14], v[17:18], -v[0:1]
	v_fma_f64 v[0:1], -v[13:14], v[15:16], v[2:3]
	v_fma_f64 v[2:3], v[19:20], v[15:16], v[6:7]
	v_fma_f64 v[6:7], v[13:14], v[15:16], v[8:9]
	;; [unrolled: 1-line block ×3, first 2 shown]
	ds_write_b128 v82, v[0:3] offset:7040
	ds_write_b128 v10, v[6:9] offset:12320
	s_and_saveexec_b64 s[6:7], vcc
	s_cbranch_execz .LBB0_21
; %bb.20:
	s_movk_i32 s2, 0x2000
	v_add_co_u32_e64 v0, s[2:3], s2, v4
	v_addc_co_u32_e64 v1, s[2:3], 0, v5, s[2:3]
	global_load_dwordx4 v[0:3], v[0:1], off offset:608
	ds_read_b128 v[4:7], v82 offset:8800
	ds_read_b128 v[11:14], v10 offset:10560
	s_waitcnt lgkmcnt(0)
	v_add_f64 v[8:9], v[4:5], v[11:12]
	v_add_f64 v[15:16], v[13:14], v[6:7]
	v_add_f64 v[11:12], v[4:5], -v[11:12]
	v_add_f64 v[4:5], v[6:7], -v[13:14]
	s_waitcnt vmcnt(0)
	v_fma_f64 v[6:7], v[11:12], v[2:3], v[8:9]
	v_fma_f64 v[13:14], v[15:16], v[2:3], v[4:5]
	v_fma_f64 v[8:9], -v[11:12], v[2:3], v[8:9]
	v_fma_f64 v[17:18], v[15:16], v[2:3], -v[4:5]
	v_fma_f64 v[2:3], -v[15:16], v[0:1], v[6:7]
	v_fma_f64 v[4:5], v[11:12], v[0:1], v[13:14]
	v_fma_f64 v[6:7], v[15:16], v[0:1], v[8:9]
	v_fma_f64 v[8:9], v[11:12], v[0:1], v[17:18]
	ds_write_b128 v82, v[2:5] offset:8800
	ds_write_b128 v10, v[6:9] offset:10560
.LBB0_21:
	s_or_b64 exec, exec, s[6:7]
	s_waitcnt lgkmcnt(0)
	s_barrier
	s_barrier
	ds_read_b128 v[0:3], v82 offset:9680
	ds_read_b128 v[4:7], v82
	ds_read_b128 v[8:11], v82 offset:1760
	ds_read_b128 v[12:15], v82 offset:11440
	;; [unrolled: 1-line block ×6, first 2 shown]
	s_waitcnt lgkmcnt(6)
	v_add_f64 v[0:1], v[4:5], -v[0:1]
	v_add_f64 v[2:3], v[6:7], -v[2:3]
	s_waitcnt lgkmcnt(4)
	v_add_f64 v[12:13], v[8:9], -v[12:13]
	v_add_f64 v[14:15], v[10:11], -v[14:15]
	;; [unrolled: 3-line block ×3, first 2 shown]
	ds_read_b128 v[32:35], v82 offset:7040
	ds_read_b128 v[36:39], v82 offset:8800
	;; [unrolled: 1-line block ×4, first 2 shown]
	v_lshl_add_u32 v48, v80, 4, v82
	v_fma_f64 v[4:5], v[4:5], 2.0, -v[0:1]
	v_fma_f64 v[6:7], v[6:7], 2.0, -v[2:3]
	;; [unrolled: 1-line block ×4, first 2 shown]
	v_add_u32_e32 v83, 0x6e, v80
	s_waitcnt lgkmcnt(0)
	s_barrier
	ds_write_b128 v48, v[4:7]
	ds_write_b128 v48, v[0:3] offset:16
	v_lshl_add_u32 v0, v83, 5, 0
	ds_write_b128 v0, v[8:11]
	ds_write_b128 v0, v[12:15] offset:16
	v_add_f64 v[12:13], v[20:21], -v[28:29]
	v_add_f64 v[14:15], v[22:23], -v[30:31]
	;; [unrolled: 1-line block ×4, first 2 shown]
	v_fma_f64 v[8:9], v[16:17], 2.0, -v[24:25]
	v_fma_f64 v[10:11], v[18:19], 2.0, -v[26:27]
	v_add_f64 v[16:17], v[32:33], -v[40:41]
	v_add_f64 v[18:19], v[34:35], -v[42:43]
	v_fma_f64 v[20:21], v[20:21], 2.0, -v[12:13]
	v_fma_f64 v[22:23], v[22:23], 2.0, -v[14:15]
	;; [unrolled: 1-line block ×4, first 2 shown]
	v_add_u32_e32 v81, 0xdc, v80
	v_lshl_add_u32 v40, v81, 5, 0
	v_fma_f64 v[28:29], v[32:33], 2.0, -v[16:17]
	v_fma_f64 v[30:31], v[34:35], 2.0, -v[18:19]
	ds_write_b128 v40, v[8:11]
	ds_write_b128 v40, v[24:27] offset:16
	v_lshl_add_u32 v8, v80, 5, 0
	ds_write_b128 v8, v[20:23] offset:10560
	ds_write_b128 v8, v[12:15] offset:10576
	;; [unrolled: 1-line block ×4, first 2 shown]
	s_and_saveexec_b64 s[2:3], vcc
	s_cbranch_execz .LBB0_23
; %bb.22:
	ds_write_b128 v8, v[0:3] offset:17600
	ds_write_b128 v8, v[4:7] offset:17616
.LBB0_23:
	s_or_b64 exec, exec, s[2:3]
	s_waitcnt lgkmcnt(0)
	s_barrier
	ds_read_b128 v[40:43], v82
	ds_read_b128 v[20:23], v82 offset:1760
	ds_read_b128 v[72:75], v82 offset:3872
	;; [unrolled: 1-line block ×9, first 2 shown]
	v_cmp_gt_u32_e32 vcc, 22, v80
                                        ; implicit-def: $vgpr18_vgpr19
                                        ; implicit-def: $vgpr14_vgpr15
                                        ; implicit-def: $vgpr10_vgpr11
	s_and_saveexec_b64 s[2:3], vcc
	s_cbranch_execz .LBB0_25
; %bb.24:
	ds_read_b128 v[0:3], v82 offset:3520
	ds_read_b128 v[4:7], v82 offset:7392
	;; [unrolled: 1-line block ×5, first 2 shown]
.LBB0_25:
	s_or_b64 exec, exec, s[2:3]
	v_and_b32_e32 v84, 1, v80
	v_lshlrev_b32_e32 v85, 6, v84
	global_load_dwordx4 v[32:35], v85, s[12:13]
	global_load_dwordx4 v[28:31], v85, s[12:13] offset:16
	global_load_dwordx4 v[24:27], v85, s[12:13] offset:32
	;; [unrolled: 1-line block ×3, first 2 shown]
	s_mov_b32 s14, 0x134454ff
	s_mov_b32 s15, 0x3fee6f0e
	;; [unrolled: 1-line block ×10, first 2 shown]
	s_waitcnt vmcnt(0) lgkmcnt(0)
	s_barrier
	v_mul_f64 v[85:86], v[74:75], v[34:35]
	v_mul_f64 v[87:88], v[72:73], v[34:35]
	;; [unrolled: 1-line block ×8, first 2 shown]
	v_fma_f64 v[72:73], v[72:73], v[32:33], -v[85:86]
	v_fma_f64 v[74:75], v[74:75], v[32:33], v[87:88]
	v_mul_f64 v[85:86], v[46:47], v[30:31]
	v_mul_f64 v[87:88], v[44:45], v[30:31]
	v_fma_f64 v[68:69], v[68:69], v[28:29], -v[89:90]
	v_fma_f64 v[70:71], v[70:71], v[28:29], v[91:92]
	v_mul_f64 v[91:92], v[48:49], v[26:27]
	v_fma_f64 v[64:65], v[64:65], v[24:25], -v[93:94]
	v_fma_f64 v[60:61], v[60:61], v[36:37], -v[97:98]
	v_mul_f64 v[101:102], v[58:59], v[34:35]
	v_mul_f64 v[103:104], v[56:57], v[34:35]
	;; [unrolled: 1-line block ×3, first 2 shown]
	v_fma_f64 v[66:67], v[66:67], v[24:25], v[95:96]
	v_mul_f64 v[93:94], v[54:55], v[38:39]
	v_mul_f64 v[95:96], v[52:53], v[38:39]
	v_fma_f64 v[62:63], v[62:63], v[36:37], v[99:100]
	v_fma_f64 v[85:86], v[44:45], v[28:29], -v[85:86]
	v_fma_f64 v[87:88], v[46:47], v[28:29], v[87:88]
	v_fma_f64 v[91:92], v[50:51], v[24:25], v[91:92]
	v_add_f64 v[44:45], v[40:41], v[72:73]
	v_add_f64 v[46:47], v[68:69], v[64:65]
	;; [unrolled: 1-line block ×3, first 2 shown]
	v_fma_f64 v[97:98], v[56:57], v[32:33], -v[101:102]
	v_fma_f64 v[99:100], v[58:59], v[32:33], v[103:104]
	v_fma_f64 v[93:94], v[52:53], v[36:37], -v[93:94]
	v_fma_f64 v[95:96], v[54:55], v[36:37], v[95:96]
	v_add_f64 v[52:53], v[70:71], v[66:67]
	v_add_f64 v[54:55], v[74:75], v[62:63]
	v_add_f64 v[101:102], v[68:69], -v[72:73]
	v_add_f64 v[103:104], v[42:43], v[74:75]
	v_fma_f64 v[46:47], v[46:47], -0.5, v[40:41]
	v_fma_f64 v[50:51], v[50:51], -0.5, v[40:41]
	v_add_f64 v[40:41], v[64:65], -v[60:61]
	v_add_f64 v[44:45], v[44:45], v[68:69]
	v_fma_f64 v[89:90], v[48:49], v[24:25], -v[89:90]
	v_add_f64 v[48:49], v[74:75], -v[62:63]
	v_add_f64 v[56:57], v[72:73], -v[68:69]
	;; [unrolled: 1-line block ×3, first 2 shown]
	v_fma_f64 v[52:53], v[52:53], -0.5, v[42:43]
	v_fma_f64 v[54:55], v[54:55], -0.5, v[42:43]
	v_add_f64 v[42:43], v[74:75], -v[70:71]
	v_add_f64 v[74:75], v[70:71], -v[74:75]
	v_add_f64 v[103:104], v[103:104], v[70:71]
	v_add_f64 v[70:71], v[70:71], -v[66:67]
	v_add_f64 v[72:73], v[72:73], -v[60:61]
	v_add_f64 v[101:102], v[101:102], v[40:41]
	v_add_f64 v[40:41], v[66:67], -v[62:63]
	v_add_f64 v[44:45], v[44:45], v[64:65]
	v_add_f64 v[56:57], v[56:57], v[58:59]
	v_add_f64 v[58:59], v[62:63], -v[66:67]
	v_add_f64 v[68:69], v[68:69], -v[64:65]
	v_add_f64 v[66:67], v[103:104], v[66:67]
	v_fma_f64 v[107:108], v[48:49], s[14:15], v[46:47]
	v_fma_f64 v[46:47], v[48:49], s[16:17], v[46:47]
	v_add_f64 v[74:75], v[74:75], v[40:41]
	v_add_f64 v[40:41], v[44:45], v[60:61]
	v_fma_f64 v[44:45], v[70:71], s[16:17], v[50:51]
	v_fma_f64 v[60:61], v[72:73], s[16:17], v[52:53]
	v_add_f64 v[103:104], v[85:86], v[89:90]
	v_add_f64 v[58:59], v[42:43], v[58:59]
	;; [unrolled: 1-line block ×3, first 2 shown]
	v_fma_f64 v[50:51], v[70:71], s[14:15], v[50:51]
	v_fma_f64 v[52:53], v[72:73], s[14:15], v[52:53]
	;; [unrolled: 1-line block ×8, first 2 shown]
	v_add_f64 v[64:65], v[20:21], v[97:98]
	v_add_f64 v[105:106], v[99:100], -v[95:96]
	v_fma_f64 v[107:108], v[48:49], s[8:9], v[50:51]
	v_fma_f64 v[50:51], v[68:69], s[6:7], v[52:53]
	;; [unrolled: 1-line block ×6, first 2 shown]
	v_add_f64 v[60:61], v[97:98], v[93:94]
	v_fma_f64 v[70:71], v[103:104], -0.5, v[20:21]
	v_fma_f64 v[44:45], v[56:57], s[2:3], v[62:63]
	v_fma_f64 v[48:49], v[56:57], s[2:3], v[66:67]
	v_fma_f64 v[50:51], v[58:59], s[2:3], v[50:51]
	v_add_f64 v[62:63], v[85:86], -v[97:98]
	v_add_f64 v[66:67], v[89:90], -v[93:94]
	v_fma_f64 v[58:59], v[74:75], s[2:3], v[72:73]
	v_add_f64 v[72:73], v[87:88], -v[91:92]
	v_add_f64 v[64:65], v[64:65], v[85:86]
	v_fma_f64 v[20:21], v[60:61], -0.5, v[20:21]
	v_fma_f64 v[60:61], v[105:106], s[14:15], v[70:71]
	v_fma_f64 v[70:71], v[105:106], s[16:17], v[70:71]
	v_add_f64 v[109:110], v[97:98], -v[85:86]
	v_add_f64 v[68:69], v[93:94], -v[89:90]
	v_fma_f64 v[54:55], v[74:75], s[2:3], v[111:112]
	v_add_f64 v[74:75], v[22:23], v[99:100]
	v_add_f64 v[62:63], v[62:63], v[66:67]
	v_add_f64 v[66:67], v[87:88], v[91:92]
	v_add_f64 v[85:86], v[85:86], -v[89:90]
	v_add_f64 v[64:65], v[64:65], v[89:90]
	v_fma_f64 v[89:90], v[72:73], s[16:17], v[20:21]
	v_fma_f64 v[20:21], v[72:73], s[14:15], v[20:21]
	;; [unrolled: 1-line block ×4, first 2 shown]
	v_add_f64 v[72:73], v[99:100], v[95:96]
	v_add_f64 v[74:75], v[74:75], v[87:88]
	v_fma_f64 v[66:67], v[66:67], -0.5, v[22:23]
	v_add_f64 v[97:98], v[97:98], -v[93:94]
	v_fma_f64 v[56:57], v[101:102], s[2:3], v[107:108]
	v_fma_f64 v[89:90], v[105:106], s[6:7], v[89:90]
	v_add_f64 v[101:102], v[99:100], -v[87:88]
	v_add_f64 v[103:104], v[95:96], -v[91:92]
	v_fma_f64 v[22:23], v[72:73], -0.5, v[22:23]
	v_fma_f64 v[72:73], v[105:106], s[8:9], v[20:21]
	v_add_f64 v[74:75], v[74:75], v[91:92]
	v_fma_f64 v[105:106], v[97:98], s[16:17], v[66:67]
	v_fma_f64 v[66:67], v[97:98], s[14:15], v[66:67]
	v_add_f64 v[87:88], v[87:88], -v[99:100]
	v_add_f64 v[91:92], v[91:92], -v[95:96]
	v_add_f64 v[68:69], v[109:110], v[68:69]
	v_fma_f64 v[99:100], v[85:86], s[14:15], v[22:23]
	v_fma_f64 v[22:23], v[85:86], s[16:17], v[22:23]
	v_add_f64 v[20:21], v[64:65], v[93:94]
	v_add_f64 v[93:94], v[101:102], v[103:104]
	v_fma_f64 v[101:102], v[85:86], s[8:9], v[105:106]
	v_fma_f64 v[66:67], v[85:86], s[6:7], v[66:67]
	v_add_f64 v[87:88], v[87:88], v[91:92]
	v_fma_f64 v[64:65], v[68:69], s[2:3], v[70:71]
	v_fma_f64 v[85:86], v[97:98], s[8:9], v[99:100]
	;; [unrolled: 1-line block ×3, first 2 shown]
	v_add_f64 v[22:23], v[74:75], v[95:96]
	v_fma_f64 v[60:61], v[68:69], s[2:3], v[60:61]
	v_fma_f64 v[68:69], v[62:63], s[2:3], v[89:90]
	;; [unrolled: 1-line block ×6, first 2 shown]
	v_lshrrev_b32_e32 v85, 1, v80
	v_mul_u32_u24_e32 v85, 10, v85
	v_or_b32_e32 v85, v85, v84
	v_fma_f64 v[74:75], v[87:88], s[2:3], v[91:92]
	v_lshl_add_u32 v85, v85, 4, 0
	ds_write_b128 v85, v[40:43]
	ds_write_b128 v85, v[44:47] offset:32
	ds_write_b128 v85, v[52:55] offset:64
	ds_write_b128 v85, v[56:59] offset:96
	ds_write_b128 v85, v[48:51] offset:128
	v_lshrrev_b32_e32 v40, 1, v83
	v_mul_u32_u24_e32 v40, 10, v40
	v_or_b32_e32 v40, v40, v84
	v_lshl_add_u32 v40, v40, 4, 0
	ds_write_b128 v40, v[20:23]
	ds_write_b128 v40, v[60:63] offset:32
	ds_write_b128 v40, v[68:71] offset:64
	;; [unrolled: 1-line block ×4, first 2 shown]
	s_and_saveexec_b64 s[18:19], vcc
	s_cbranch_execz .LBB0_27
; %bb.26:
	v_mul_f64 v[22:23], v[4:5], v[34:35]
	v_mul_f64 v[40:41], v[16:17], v[38:39]
	;; [unrolled: 1-line block ×8, first 2 shown]
	v_fma_f64 v[6:7], v[6:7], v[32:33], v[22:23]
	v_fma_f64 v[18:19], v[18:19], v[36:37], v[40:41]
	;; [unrolled: 1-line block ×4, first 2 shown]
	v_fma_f64 v[4:5], v[4:5], v[32:33], -v[34:35]
	v_fma_f64 v[16:17], v[16:17], v[36:37], -v[38:39]
	v_fma_f64 v[8:9], v[8:9], v[28:29], -v[30:31]
	v_fma_f64 v[12:13], v[12:13], v[24:25], -v[26:27]
	v_add_f64 v[36:37], v[2:3], v[6:7]
	v_add_f64 v[20:21], v[6:7], v[18:19]
	v_add_f64 v[22:23], v[10:11], -v[6:7]
	v_add_f64 v[30:31], v[10:11], v[14:15]
	v_add_f64 v[24:25], v[14:15], -v[18:19]
	v_add_f64 v[26:27], v[4:5], -v[16:17]
	;; [unrolled: 1-line block ×5, first 2 shown]
	v_fma_f64 v[20:21], v[20:21], -0.5, v[2:3]
	v_add_f64 v[6:7], v[8:9], v[12:13]
	v_fma_f64 v[2:3], v[30:31], -0.5, v[2:3]
	v_add_f64 v[30:31], v[4:5], v[16:17]
	v_add_f64 v[48:49], v[0:1], v[4:5]
	;; [unrolled: 1-line block ×3, first 2 shown]
	v_add_f64 v[34:35], v[18:19], -v[14:15]
	v_add_f64 v[42:43], v[10:11], -v[14:15]
	v_fma_f64 v[44:45], v[28:29], s[16:17], v[20:21]
	v_fma_f64 v[20:21], v[28:29], s[14:15], v[20:21]
	v_fma_f64 v[24:25], v[26:27], s[14:15], v[2:3]
	v_fma_f64 v[2:3], v[26:27], s[16:17], v[2:3]
	v_add_f64 v[38:39], v[8:9], -v[4:5]
	v_add_f64 v[10:11], v[36:37], v[10:11]
	v_add_f64 v[4:5], v[4:5], -v[8:9]
	v_add_f64 v[8:9], v[48:49], v[8:9]
	v_fma_f64 v[44:45], v[26:27], s[6:7], v[44:45]
	v_fma_f64 v[20:21], v[26:27], s[8:9], v[20:21]
	v_fma_f64 v[26:27], v[30:31], -0.5, v[0:1]
	v_fma_f64 v[0:1], v[6:7], -0.5, v[0:1]
	v_fma_f64 v[24:25], v[28:29], s[6:7], v[24:25]
	v_fma_f64 v[28:29], v[28:29], s[8:9], v[2:3]
	v_add_f64 v[30:31], v[32:33], v[34:35]
	v_add_f64 v[40:41], v[12:13], -v[16:17]
	v_fma_f64 v[2:3], v[22:23], s[2:3], v[44:45]
	v_fma_f64 v[6:7], v[22:23], s[2:3], v[20:21]
	v_add_f64 v[22:23], v[16:17], -v[12:13]
	v_fma_f64 v[32:33], v[46:47], s[14:15], v[0:1]
	v_fma_f64 v[20:21], v[42:43], s[14:15], v[26:27]
	;; [unrolled: 1-line block ×4, first 2 shown]
	v_add_f64 v[34:35], v[10:11], v[14:15]
	v_add_f64 v[36:37], v[38:39], v[40:41]
	v_fma_f64 v[14:15], v[30:31], s[2:3], v[28:29]
	v_add_f64 v[22:23], v[4:5], v[22:23]
	v_add_f64 v[4:5], v[8:9], v[12:13]
	v_fma_f64 v[8:9], v[42:43], s[6:7], v[32:33]
	v_fma_f64 v[26:27], v[46:47], s[6:7], v[26:27]
	;; [unrolled: 1-line block ×4, first 2 shown]
	v_add_f64 v[18:19], v[34:35], v[18:19]
	v_fma_f64 v[10:11], v[30:31], s[2:3], v[24:25]
	v_add_f64 v[16:17], v[4:5], v[16:17]
	v_fma_f64 v[12:13], v[22:23], s[2:3], v[8:9]
	v_fma_f64 v[4:5], v[36:37], s[2:3], v[26:27]
	;; [unrolled: 1-line block ×4, first 2 shown]
	v_lshrrev_b32_e32 v20, 1, v81
	v_mul_u32_u24_e32 v20, 10, v20
	v_or_b32_e32 v20, v20, v84
	v_lshl_add_u32 v20, v20, 4, 0
	ds_write_b128 v20, v[16:19]
	ds_write_b128 v20, v[12:15] offset:32
	ds_write_b128 v20, v[4:7] offset:64
	;; [unrolled: 1-line block ×4, first 2 shown]
.LBB0_27:
	s_or_b64 exec, exec, s[18:19]
	s_movk_i32 s2, 0xcd
	v_mul_lo_u16_sdwa v0, v80, s2 dst_sel:DWORD dst_unused:UNUSED_PAD src0_sel:BYTE_0 src1_sel:DWORD
	v_lshrrev_b16_e32 v0, 11, v0
	v_mul_lo_u16_e32 v1, 10, v0
	v_sub_u16_e32 v1, v80, v1
	v_mov_b32_e32 v2, 10
	v_mul_u32_u24_sdwa v2, v1, v2 dst_sel:DWORD dst_unused:UNUSED_PAD src0_sel:BYTE_0 src1_sel:DWORD
	v_lshlrev_b32_e32 v42, 4, v2
	s_waitcnt lgkmcnt(0)
	s_barrier
	global_load_dwordx4 v[2:5], v42, s[12:13] offset:128
	global_load_dwordx4 v[6:9], v42, s[12:13] offset:144
	;; [unrolled: 1-line block ×10, first 2 shown]
	ds_read_b128 v[42:45], v82
	ds_read_b128 v[46:49], v82 offset:1760
	ds_read_b128 v[50:53], v82 offset:3520
	;; [unrolled: 1-line block ×10, first 2 shown]
	s_mov_b32 s22, 0xf8bb580b
	s_mov_b32 s30, 0x8eee2c13
	;; [unrolled: 1-line block ×28, first 2 shown]
	v_mul_u32_u24_e32 v0, 0x6e0, v0
	s_waitcnt vmcnt(0) lgkmcnt(0)
	s_barrier
	v_mul_f64 v[74:75], v[48:49], v[4:5]
	v_mul_f64 v[4:5], v[46:47], v[4:5]
	;; [unrolled: 1-line block ×17, first 2 shown]
	v_fma_f64 v[46:47], v[46:47], v[2:3], -v[74:75]
	v_fma_f64 v[2:3], v[48:49], v[2:3], v[4:5]
	v_mul_f64 v[4:5], v[87:88], v[36:37]
	v_mul_f64 v[36:37], v[93:94], v[40:41]
	;; [unrolled: 1-line block ×3, first 2 shown]
	v_fma_f64 v[48:49], v[50:51], v[6:7], -v[95:96]
	v_fma_f64 v[6:7], v[52:53], v[6:7], v[8:9]
	v_fma_f64 v[8:9], v[54:55], v[10:11], -v[97:98]
	v_fma_f64 v[10:11], v[56:57], v[10:11], v[12:13]
	;; [unrolled: 2-line block ×9, first 2 shown]
	v_add_f64 v[34:35], v[42:43], v[46:47]
	v_add_f64 v[40:41], v[44:45], v[2:3]
	;; [unrolled: 1-line block ×4, first 2 shown]
	v_add_f64 v[2:3], v[2:3], -v[36:37]
	v_add_f64 v[46:47], v[46:47], -v[28:29]
	v_add_f64 v[54:55], v[48:49], v[32:33]
	v_add_f64 v[56:57], v[6:7], v[4:5]
	;; [unrolled: 1-line block ×3, first 2 shown]
	v_add_f64 v[60:61], v[6:7], -v[4:5]
	v_add_f64 v[6:7], v[40:41], v[6:7]
	v_add_f64 v[58:59], v[48:49], -v[32:33]
	v_mul_f64 v[40:41], v[2:3], s[22:23]
	v_mul_f64 v[62:63], v[2:3], s[30:31]
	;; [unrolled: 1-line block ×4, first 2 shown]
	v_add_f64 v[34:35], v[34:35], v[8:9]
	v_mul_f64 v[2:3], v[2:3], s[24:25]
	v_add_f64 v[6:7], v[6:7], v[10:11]
	v_mul_f64 v[48:49], v[46:47], s[22:23]
	v_fma_f64 v[89:90], v[50:51], s[14:15], -v[40:41]
	v_fma_f64 v[40:41], v[50:51], s[14:15], v[40:41]
	v_fma_f64 v[93:94], v[50:51], s[2:3], -v[62:63]
	v_fma_f64 v[62:63], v[50:51], s[2:3], v[62:63]
	v_add_f64 v[34:35], v[34:35], v[12:13]
	v_fma_f64 v[97:98], v[50:51], s[6:7], -v[66:67]
	v_add_f64 v[6:7], v[6:7], v[14:15]
	v_fma_f64 v[66:67], v[50:51], s[6:7], v[66:67]
	v_fma_f64 v[101:102], v[50:51], s[16:17], -v[70:71]
	v_fma_f64 v[70:71], v[50:51], s[16:17], v[70:71]
	v_fma_f64 v[105:106], v[50:51], s[20:21], -v[2:3]
	v_fma_f64 v[50:51], v[50:51], s[20:21], v[2:3]
	v_add_f64 v[34:35], v[34:35], v[16:17]
	v_mul_f64 v[64:65], v[46:47], s[30:31]
	v_add_f64 v[6:7], v[6:7], v[18:19]
	v_mul_f64 v[68:69], v[46:47], s[8:9]
	v_mul_f64 v[72:73], v[46:47], s[18:19]
	;; [unrolled: 1-line block ×5, first 2 shown]
	v_add_f64 v[34:35], v[34:35], v[20:21]
	v_mul_f64 v[85:86], v[60:61], s[18:19]
	v_add_f64 v[6:7], v[6:7], v[22:23]
	v_fma_f64 v[91:92], v[52:53], s[14:15], v[48:49]
	v_fma_f64 v[48:49], v[52:53], s[14:15], -v[48:49]
	v_fma_f64 v[95:96], v[52:53], s[2:3], v[64:65]
	v_fma_f64 v[64:65], v[52:53], s[2:3], -v[64:65]
	v_fma_f64 v[99:100], v[52:53], s[6:7], v[68:69]
	v_add_f64 v[2:3], v[34:35], v[24:25]
	v_fma_f64 v[68:69], v[52:53], s[6:7], -v[68:69]
	v_add_f64 v[6:7], v[6:7], v[26:27]
	v_fma_f64 v[103:104], v[52:53], s[16:17], v[72:73]
	v_fma_f64 v[72:73], v[52:53], s[16:17], -v[72:73]
	v_fma_f64 v[107:108], v[52:53], s[20:21], v[46:47]
	v_fma_f64 v[46:47], v[52:53], s[20:21], -v[46:47]
	v_fma_f64 v[52:53], v[54:55], s[2:3], -v[74:75]
	v_add_f64 v[2:3], v[2:3], v[38:39]
	v_add_f64 v[34:35], v[42:43], v[89:90]
	;; [unrolled: 1-line block ×3, first 2 shown]
	v_fma_f64 v[109:110], v[56:57], s[2:3], v[83:84]
	v_add_f64 v[89:90], v[44:45], v[91:92]
	v_add_f64 v[40:41], v[42:43], v[40:41]
	;; [unrolled: 1-line block ×14, first 2 shown]
	v_fma_f64 v[28:29], v[54:55], s[16:17], -v[85:86]
	v_add_f64 v[42:43], v[42:43], v[50:51]
	v_add_f64 v[34:35], v[52:53], v[34:35]
	v_mul_f64 v[50:51], v[60:61], s[36:37]
	v_mul_f64 v[52:53], v[58:59], s[36:37]
	;; [unrolled: 1-line block ×3, first 2 shown]
	v_fma_f64 v[74:75], v[54:55], s[2:3], v[74:75]
	v_fma_f64 v[83:84], v[56:57], s[2:3], -v[83:84]
	v_add_f64 v[48:49], v[44:45], v[48:49]
	v_add_f64 v[64:65], v[44:45], v[64:65]
	v_add_f64 v[68:69], v[44:45], v[68:69]
	v_add_f64 v[32:33], v[44:45], v[103:104]
	v_add_f64 v[72:73], v[44:45], v[72:73]
	v_add_f64 v[101:102], v[44:45], v[107:108]
	v_add_f64 v[44:45], v[44:45], v[46:47]
	v_add_f64 v[46:47], v[109:110], v[89:90]
	v_add_f64 v[28:29], v[28:29], v[91:92]
	v_fma_f64 v[89:90], v[54:55], s[20:21], -v[50:51]
	v_fma_f64 v[91:92], v[56:57], s[20:21], v[52:53]
	v_fma_f64 v[50:51], v[54:55], s[20:21], v[50:51]
	v_fma_f64 v[52:53], v[56:57], s[20:21], -v[52:53]
	v_add_f64 v[4:5], v[4:5], v[36:37]
	v_fma_f64 v[36:37], v[56:57], s[16:17], v[87:88]
	v_add_f64 v[40:41], v[74:75], v[40:41]
	v_add_f64 v[48:49], v[83:84], v[48:49]
	v_mul_f64 v[74:75], v[60:61], s[34:35]
	v_mul_f64 v[83:84], v[58:59], s[34:35]
	v_fma_f64 v[85:86], v[54:55], s[16:17], v[85:86]
	v_fma_f64 v[87:88], v[56:57], s[16:17], -v[87:88]
	v_add_f64 v[50:51], v[50:51], v[66:67]
	v_add_f64 v[52:53], v[52:53], v[68:69]
	v_add_f64 v[66:67], v[10:11], -v[30:31]
	v_add_f64 v[68:69], v[8:9], -v[38:39]
	v_mul_f64 v[60:61], v[60:61], s[26:27]
	v_mul_f64 v[58:59], v[58:59], s[26:27]
	v_add_f64 v[36:37], v[36:37], v[93:94]
	v_fma_f64 v[93:94], v[54:55], s[6:7], -v[74:75]
	v_fma_f64 v[103:104], v[56:57], s[6:7], v[83:84]
	v_add_f64 v[62:63], v[85:86], v[62:63]
	v_add_f64 v[64:65], v[87:88], v[64:65]
	;; [unrolled: 1-line block ×4, first 2 shown]
	v_fma_f64 v[74:75], v[54:55], s[6:7], v[74:75]
	v_fma_f64 v[83:84], v[56:57], s[6:7], -v[83:84]
	v_add_f64 v[8:9], v[8:9], v[38:39]
	v_add_f64 v[10:11], v[10:11], v[30:31]
	v_mul_f64 v[30:31], v[66:67], s[8:9]
	v_mul_f64 v[38:39], v[68:69], s[8:9]
	v_fma_f64 v[89:90], v[54:55], s[14:15], -v[60:61]
	v_fma_f64 v[91:92], v[56:57], s[14:15], v[58:59]
	v_add_f64 v[70:71], v[74:75], v[70:71]
	v_add_f64 v[72:73], v[83:84], v[72:73]
	v_fma_f64 v[54:55], v[54:55], s[14:15], v[60:61]
	v_fma_f64 v[56:57], v[56:57], s[14:15], -v[58:59]
	v_fma_f64 v[58:59], v[8:9], s[6:7], -v[30:31]
	v_fma_f64 v[60:61], v[10:11], s[6:7], v[38:39]
	v_add_f64 v[74:75], v[89:90], v[99:100]
	v_add_f64 v[83:84], v[91:92], v[101:102]
	v_mul_f64 v[89:90], v[66:67], s[36:37]
	v_mul_f64 v[91:92], v[68:69], s[36:37]
	v_fma_f64 v[30:31], v[8:9], s[6:7], v[30:31]
	v_fma_f64 v[38:39], v[10:11], s[6:7], -v[38:39]
	v_add_f64 v[42:43], v[54:55], v[42:43]
	v_add_f64 v[44:45], v[56:57], v[44:45]
	;; [unrolled: 1-line block ×4, first 2 shown]
	v_fma_f64 v[54:55], v[8:9], s[20:21], -v[89:90]
	v_fma_f64 v[56:57], v[10:11], s[20:21], v[91:92]
	v_mul_f64 v[58:59], v[66:67], s[28:29]
	v_mul_f64 v[60:61], v[68:69], s[28:29]
	v_add_f64 v[30:31], v[30:31], v[40:41]
	v_add_f64 v[38:39], v[38:39], v[48:49]
	v_fma_f64 v[40:41], v[8:9], s[20:21], v[89:90]
	v_fma_f64 v[48:49], v[10:11], s[20:21], -v[91:92]
	v_mul_f64 v[89:90], v[66:67], s[22:23]
	v_mul_f64 v[91:92], v[68:69], s[22:23]
	v_add_f64 v[6:7], v[93:94], v[6:7]
	v_add_f64 v[32:33], v[103:104], v[32:33]
	v_add_f64 v[28:29], v[54:55], v[28:29]
	v_add_f64 v[36:37], v[56:57], v[36:37]
	v_fma_f64 v[54:55], v[8:9], s[2:3], -v[58:59]
	v_fma_f64 v[56:57], v[10:11], s[2:3], v[60:61]
	v_fma_f64 v[58:59], v[8:9], s[2:3], v[58:59]
	v_fma_f64 v[60:61], v[10:11], s[2:3], -v[60:61]
	v_add_f64 v[40:41], v[40:41], v[62:63]
	v_add_f64 v[48:49], v[48:49], v[64:65]
	v_fma_f64 v[62:63], v[8:9], s[14:15], -v[89:90]
	v_fma_f64 v[64:65], v[10:11], s[14:15], v[91:92]
	v_add_f64 v[54:55], v[54:55], v[85:86]
	v_add_f64 v[56:57], v[56:57], v[87:88]
	;; [unrolled: 1-line block ×4, first 2 shown]
	v_mul_f64 v[58:59], v[66:67], s[18:19]
	v_mul_f64 v[60:61], v[68:69], s[18:19]
	v_add_f64 v[6:7], v[62:63], v[6:7]
	v_add_f64 v[32:33], v[64:65], v[32:33]
	v_add_f64 v[62:63], v[14:15], -v[26:27]
	v_add_f64 v[64:65], v[12:13], -v[24:25]
	v_fma_f64 v[66:67], v[8:9], s[14:15], v[89:90]
	v_fma_f64 v[68:69], v[10:11], s[14:15], -v[91:92]
	v_fma_f64 v[85:86], v[8:9], s[16:17], -v[58:59]
	v_fma_f64 v[87:88], v[10:11], s[16:17], v[60:61]
	v_add_f64 v[12:13], v[12:13], v[24:25]
	v_add_f64 v[14:15], v[14:15], v[26:27]
	v_mul_f64 v[24:25], v[62:63], s[18:19]
	v_mul_f64 v[26:27], v[64:65], s[18:19]
	v_fma_f64 v[8:9], v[8:9], s[16:17], v[58:59]
	v_mul_f64 v[58:59], v[62:63], s[34:35]
	v_add_f64 v[66:67], v[66:67], v[70:71]
	v_add_f64 v[68:69], v[68:69], v[72:73]
	;; [unrolled: 1-line block ×4, first 2 shown]
	v_fma_f64 v[74:75], v[12:13], s[16:17], -v[24:25]
	v_fma_f64 v[83:84], v[14:15], s[16:17], v[26:27]
	v_fma_f64 v[24:25], v[12:13], s[16:17], v[24:25]
	v_fma_f64 v[26:27], v[14:15], s[16:17], -v[26:27]
	v_add_f64 v[8:9], v[8:9], v[42:43]
	v_fma_f64 v[42:43], v[12:13], s[6:7], -v[58:59]
	v_fma_f64 v[10:11], v[10:11], s[16:17], -v[60:61]
	v_mul_f64 v[60:61], v[64:65], s[34:35]
	v_add_f64 v[34:35], v[74:75], v[34:35]
	v_add_f64 v[46:47], v[83:84], v[46:47]
	;; [unrolled: 1-line block ×4, first 2 shown]
	v_mul_f64 v[30:31], v[62:63], s[22:23]
	v_mul_f64 v[38:39], v[64:65], s[22:23]
	v_add_f64 v[28:29], v[42:43], v[28:29]
	v_mul_f64 v[42:43], v[62:63], s[24:25]
	v_add_f64 v[10:11], v[10:11], v[44:45]
	v_fma_f64 v[44:45], v[14:15], s[6:7], v[60:61]
	v_fma_f64 v[58:59], v[12:13], s[6:7], v[58:59]
	v_fma_f64 v[60:61], v[14:15], s[6:7], -v[60:61]
	v_fma_f64 v[74:75], v[12:13], s[14:15], -v[30:31]
	v_fma_f64 v[83:84], v[14:15], s[14:15], v[38:39]
	v_fma_f64 v[30:31], v[12:13], s[14:15], v[30:31]
	v_fma_f64 v[38:39], v[14:15], s[14:15], -v[38:39]
	v_fma_f64 v[85:86], v[12:13], s[20:21], -v[42:43]
	v_add_f64 v[36:37], v[44:45], v[36:37]
	v_mul_f64 v[44:45], v[64:65], s[24:25]
	v_add_f64 v[40:41], v[58:59], v[40:41]
	v_add_f64 v[48:49], v[60:61], v[48:49]
	v_add_f64 v[58:59], v[16:17], -v[20:21]
	v_add_f64 v[30:31], v[30:31], v[50:51]
	v_add_f64 v[38:39], v[38:39], v[52:53]
	;; [unrolled: 1-line block ×3, first 2 shown]
	v_add_f64 v[52:53], v[18:19], -v[22:23]
	v_mul_f64 v[6:7], v[62:63], s[28:29]
	v_mul_f64 v[60:61], v[64:65], s[28:29]
	v_fma_f64 v[87:88], v[14:15], s[20:21], v[44:45]
	v_fma_f64 v[42:43], v[12:13], s[20:21], v[42:43]
	v_fma_f64 v[44:45], v[14:15], s[20:21], -v[44:45]
	v_add_f64 v[62:63], v[16:17], v[20:21]
	v_add_f64 v[64:65], v[18:19], v[22:23]
	v_mul_f64 v[16:17], v[52:53], s[24:25]
	v_mul_f64 v[18:19], v[58:59], s[24:25]
	v_fma_f64 v[20:21], v[12:13], s[2:3], -v[6:7]
	v_fma_f64 v[22:23], v[14:15], s[2:3], v[60:61]
	v_add_f64 v[42:43], v[42:43], v[66:67]
	v_add_f64 v[44:45], v[44:45], v[68:69]
	v_fma_f64 v[6:7], v[12:13], s[2:3], v[6:7]
	v_fma_f64 v[12:13], v[14:15], s[2:3], -v[60:61]
	v_fma_f64 v[14:15], v[62:63], s[20:21], -v[16:17]
	v_fma_f64 v[60:61], v[64:65], s[20:21], v[18:19]
	v_add_f64 v[66:67], v[20:21], v[70:71]
	v_add_f64 v[68:69], v[22:23], v[72:73]
	v_mul_f64 v[20:21], v[52:53], s[26:27]
	v_mul_f64 v[22:23], v[58:59], s[26:27]
	v_add_f64 v[70:71], v[6:7], v[8:9]
	v_add_f64 v[72:73], v[12:13], v[10:11]
	;; [unrolled: 1-line block ×4, first 2 shown]
	v_fma_f64 v[10:11], v[62:63], s[20:21], v[16:17]
	v_fma_f64 v[12:13], v[64:65], s[20:21], -v[18:19]
	v_fma_f64 v[14:15], v[62:63], s[14:15], -v[20:21]
	v_fma_f64 v[16:17], v[64:65], s[14:15], v[22:23]
	v_mul_f64 v[34:35], v[52:53], s[18:19]
	v_mul_f64 v[46:47], v[58:59], s[18:19]
	v_fma_f64 v[18:19], v[62:63], s[14:15], v[20:21]
	v_fma_f64 v[20:21], v[64:65], s[14:15], -v[22:23]
	v_add_f64 v[10:11], v[10:11], v[24:25]
	v_add_f64 v[12:13], v[12:13], v[26:27]
	v_add_f64 v[14:15], v[14:15], v[28:29]
	v_add_f64 v[16:17], v[16:17], v[36:37]
	v_fma_f64 v[22:23], v[62:63], s[16:17], -v[34:35]
	v_fma_f64 v[26:27], v[62:63], s[16:17], v[34:35]
	v_fma_f64 v[28:29], v[64:65], s[16:17], -v[46:47]
	v_mul_f64 v[34:35], v[52:53], s[28:29]
	v_mul_f64 v[36:37], v[58:59], s[28:29]
	v_fma_f64 v[24:25], v[64:65], s[16:17], v[46:47]
	v_add_f64 v[18:19], v[18:19], v[40:41]
	v_mul_f64 v[40:41], v[52:53], s[8:9]
	v_mul_f64 v[46:47], v[58:59], s[8:9]
	v_add_f64 v[54:55], v[74:75], v[54:55]
	v_add_f64 v[56:57], v[83:84], v[56:57]
	;; [unrolled: 1-line block ×5, first 2 shown]
	v_fma_f64 v[30:31], v[62:63], s[2:3], -v[34:35]
	v_fma_f64 v[38:39], v[64:65], s[2:3], v[36:37]
	v_add_f64 v[20:21], v[20:21], v[48:49]
	v_fma_f64 v[36:37], v[64:65], s[2:3], -v[36:37]
	v_fma_f64 v[48:49], v[62:63], s[6:7], -v[40:41]
	v_fma_f64 v[52:53], v[64:65], s[6:7], v[46:47]
	v_fma_f64 v[46:47], v[64:65], s[6:7], -v[46:47]
	v_add_f64 v[22:23], v[22:23], v[54:55]
	v_fma_f64 v[34:35], v[62:63], s[2:3], v[34:35]
	v_fma_f64 v[54:55], v[62:63], s[6:7], v[40:41]
	v_add_f64 v[24:25], v[24:25], v[56:57]
	v_add_f64 v[30:31], v[30:31], v[50:51]
	;; [unrolled: 1-line block ×7, first 2 shown]
	v_mov_b32_e32 v46, 4
	v_add_f64 v[34:35], v[34:35], v[42:43]
	v_add_f64 v[42:43], v[54:55], v[70:71]
	v_lshlrev_b32_sdwa v1, v46, v1 dst_sel:DWORD dst_unused:UNUSED_PAD src0_sel:DWORD src1_sel:BYTE_0
	v_add3_u32 v0, 0, v0, v1
	ds_write_b128 v0, v[2:5]
	ds_write_b128 v0, v[6:9] offset:160
	ds_write_b128 v0, v[14:17] offset:320
	;; [unrolled: 1-line block ×10, first 2 shown]
	v_mul_u32_u24_e32 v0, 10, v80
	v_lshlrev_b32_e32 v40, 4, v0
	s_waitcnt lgkmcnt(0)
	s_barrier
	global_load_dwordx4 v[0:3], v40, s[12:13] offset:1728
	global_load_dwordx4 v[4:7], v40, s[12:13] offset:1744
	;; [unrolled: 1-line block ×10, first 2 shown]
	ds_read_b128 v[40:43], v82 offset:1760
	ds_read_b128 v[44:47], v82 offset:3520
	ds_read_b128 v[48:51], v82
	ds_read_b128 v[52:55], v82 offset:5280
	s_waitcnt vmcnt(9) lgkmcnt(3)
	v_mul_f64 v[56:57], v[42:43], v[2:3]
	v_mul_f64 v[2:3], v[40:41], v[2:3]
	s_waitcnt vmcnt(8) lgkmcnt(2)
	v_mul_f64 v[58:59], v[46:47], v[6:7]
	v_mul_f64 v[6:7], v[44:45], v[6:7]
	v_fma_f64 v[40:41], v[40:41], v[0:1], -v[56:57]
	v_fma_f64 v[42:43], v[42:43], v[0:1], v[2:3]
	ds_read_b128 v[0:3], v82 offset:7040
	v_fma_f64 v[44:45], v[44:45], v[4:5], -v[58:59]
	s_waitcnt vmcnt(7) lgkmcnt(1)
	v_mul_f64 v[56:57], v[54:55], v[10:11]
	v_mul_f64 v[10:11], v[52:53], v[10:11]
	v_fma_f64 v[46:47], v[46:47], v[4:5], v[6:7]
	s_waitcnt vmcnt(6) lgkmcnt(0)
	v_mul_f64 v[62:63], v[2:3], v[14:15]
	v_add_f64 v[58:59], v[48:49], v[40:41]
	v_add_f64 v[60:61], v[50:51], v[42:43]
	ds_read_b128 v[4:7], v82 offset:8800
	v_fma_f64 v[52:53], v[52:53], v[8:9], -v[56:57]
	v_fma_f64 v[54:55], v[54:55], v[8:9], v[10:11]
	v_mul_f64 v[8:9], v[0:1], v[14:15]
	v_fma_f64 v[56:57], v[0:1], v[12:13], -v[62:63]
	v_add_f64 v[10:11], v[58:59], v[44:45]
	v_add_f64 v[14:15], v[60:61], v[46:47]
	s_waitcnt vmcnt(5) lgkmcnt(0)
	v_mul_f64 v[58:59], v[6:7], v[18:19]
	v_mul_f64 v[18:19], v[4:5], v[18:19]
	v_fma_f64 v[60:61], v[2:3], v[12:13], v[8:9]
	v_add_f64 v[12:13], v[10:11], v[52:53]
	v_add_f64 v[14:15], v[14:15], v[54:55]
	ds_read_b128 v[0:3], v82 offset:10560
	ds_read_b128 v[8:11], v82 offset:12320
	v_fma_f64 v[58:59], v[4:5], v[16:17], -v[58:59]
	v_fma_f64 v[62:63], v[6:7], v[16:17], v[18:19]
	s_waitcnt vmcnt(4) lgkmcnt(1)
	v_mul_f64 v[64:65], v[2:3], v[22:23]
	v_mul_f64 v[22:23], v[0:1], v[22:23]
	v_add_f64 v[66:67], v[12:13], v[56:57]
	s_waitcnt vmcnt(3) lgkmcnt(0)
	v_mul_f64 v[70:71], v[10:11], v[26:27]
	v_mul_f64 v[26:27], v[8:9], v[26:27]
	v_add_f64 v[68:69], v[14:15], v[60:61]
	ds_read_b128 v[4:7], v82 offset:14080
	ds_read_b128 v[12:15], v82 offset:15840
	;; [unrolled: 1-line block ×3, first 2 shown]
	s_waitcnt lgkmcnt(0)
	v_fma_f64 v[64:65], v[0:1], v[20:21], -v[64:65]
	v_fma_f64 v[20:21], v[2:3], v[20:21], v[22:23]
	v_add_f64 v[0:1], v[66:67], v[58:59]
	s_waitcnt vmcnt(2)
	v_mul_f64 v[22:23], v[6:7], v[30:31]
	v_mul_f64 v[30:31], v[4:5], v[30:31]
	v_fma_f64 v[8:9], v[8:9], v[24:25], -v[70:71]
	v_fma_f64 v[10:11], v[10:11], v[24:25], v[26:27]
	s_waitcnt vmcnt(1)
	v_mul_f64 v[24:25], v[16:17], v[34:35]
	v_add_f64 v[2:3], v[68:69], v[62:63]
	v_mul_f64 v[26:27], v[18:19], v[34:35]
	v_add_f64 v[0:1], v[0:1], v[64:65]
	v_fma_f64 v[4:5], v[4:5], v[28:29], -v[22:23]
	v_fma_f64 v[6:7], v[6:7], v[28:29], v[30:31]
	s_waitcnt vmcnt(0)
	v_mul_f64 v[22:23], v[14:15], v[38:39]
	v_mul_f64 v[28:29], v[12:13], v[38:39]
	v_fma_f64 v[18:19], v[18:19], v[32:33], v[24:25]
	v_add_f64 v[2:3], v[2:3], v[20:21]
	v_fma_f64 v[16:17], v[16:17], v[32:33], -v[26:27]
	v_add_f64 v[0:1], v[0:1], v[8:9]
	s_barrier
	v_fma_f64 v[12:13], v[12:13], v[36:37], -v[22:23]
	v_fma_f64 v[14:15], v[14:15], v[36:37], v[28:29]
	v_add_f64 v[22:23], v[42:43], -v[18:19]
	v_add_f64 v[2:3], v[2:3], v[10:11]
	v_add_f64 v[24:25], v[40:41], -v[16:17]
	v_add_f64 v[0:1], v[0:1], v[4:5]
	v_add_f64 v[26:27], v[40:41], v[16:17]
	;; [unrolled: 1-line block ×3, first 2 shown]
	v_add_f64 v[89:90], v[44:45], -v[12:13]
	v_add_f64 v[87:88], v[46:47], -v[14:15]
	v_mul_f64 v[30:31], v[22:23], s[22:23]
	v_mul_f64 v[34:35], v[22:23], s[30:31]
	;; [unrolled: 1-line block ×5, first 2 shown]
	v_add_f64 v[2:3], v[2:3], v[6:7]
	v_mul_f64 v[32:33], v[24:25], s[22:23]
	v_add_f64 v[0:1], v[0:1], v[12:13]
	v_mul_f64 v[36:37], v[24:25], s[30:31]
	v_fma_f64 v[38:39], v[26:27], s[14:15], -v[30:31]
	v_mul_f64 v[66:67], v[24:25], s[8:9]
	v_mul_f64 v[74:75], v[24:25], s[18:19]
	;; [unrolled: 1-line block ×3, first 2 shown]
	v_fma_f64 v[91:92], v[26:27], s[20:21], -v[22:23]
	v_add_f64 v[12:13], v[44:45], v[12:13]
	v_mul_f64 v[44:45], v[87:88], s[30:31]
	v_add_f64 v[2:3], v[2:3], v[14:15]
	v_fma_f64 v[40:41], v[28:29], s[14:15], v[32:33]
	v_add_f64 v[0:1], v[0:1], v[16:17]
	v_fma_f64 v[16:17], v[26:27], s[14:15], v[30:31]
	v_fma_f64 v[30:31], v[26:27], s[2:3], -v[34:35]
	v_add_f64 v[38:39], v[48:49], v[38:39]
	v_fma_f64 v[34:35], v[26:27], s[2:3], v[34:35]
	v_fma_f64 v[68:69], v[26:27], s[6:7], -v[42:43]
	v_fma_f64 v[42:43], v[26:27], s[6:7], v[42:43]
	v_fma_f64 v[83:84], v[26:27], s[16:17], -v[72:73]
	v_fma_f64 v[72:73], v[26:27], s[16:17], v[72:73]
	v_fma_f64 v[93:94], v[28:29], s[20:21], v[24:25]
	v_add_f64 v[14:15], v[46:47], v[14:15]
	v_mul_f64 v[46:47], v[89:90], s[30:31]
	v_fma_f64 v[22:23], v[26:27], s[20:21], v[22:23]
	v_add_f64 v[26:27], v[48:49], v[91:92]
	v_mul_f64 v[91:92], v[87:88], s[18:19]
	v_fma_f64 v[95:96], v[12:13], s[2:3], -v[44:45]
	v_add_f64 v[2:3], v[2:3], v[18:19]
	v_fma_f64 v[18:19], v[28:29], s[14:15], -v[32:33]
	v_fma_f64 v[32:33], v[28:29], s[2:3], v[36:37]
	v_add_f64 v[40:41], v[50:51], v[40:41]
	v_add_f64 v[16:17], v[48:49], v[16:17]
	;; [unrolled: 1-line block ×3, first 2 shown]
	v_fma_f64 v[36:37], v[28:29], s[2:3], -v[36:37]
	v_fma_f64 v[70:71], v[28:29], s[6:7], v[66:67]
	v_fma_f64 v[66:67], v[28:29], s[6:7], -v[66:67]
	v_add_f64 v[34:35], v[48:49], v[34:35]
	v_add_f64 v[68:69], v[48:49], v[68:69]
	v_fma_f64 v[85:86], v[28:29], s[16:17], v[74:75]
	v_add_f64 v[42:43], v[48:49], v[42:43]
	v_fma_f64 v[74:75], v[28:29], s[16:17], -v[74:75]
	v_add_f64 v[83:84], v[48:49], v[83:84]
	v_add_f64 v[72:73], v[48:49], v[72:73]
	v_fma_f64 v[24:25], v[28:29], s[20:21], -v[24:25]
	v_add_f64 v[28:29], v[50:51], v[93:94]
	v_mul_f64 v[93:94], v[89:90], s[18:19]
	v_fma_f64 v[97:98], v[14:15], s[2:3], v[46:47]
	v_add_f64 v[22:23], v[48:49], v[22:23]
	v_fma_f64 v[44:45], v[12:13], s[2:3], v[44:45]
	v_fma_f64 v[48:49], v[12:13], s[16:17], -v[91:92]
	v_add_f64 v[38:39], v[95:96], v[38:39]
	v_mul_f64 v[95:96], v[87:88], s[36:37]
	v_add_f64 v[18:19], v[50:51], v[18:19]
	v_add_f64 v[32:33], v[50:51], v[32:33]
	v_add_f64 v[36:37], v[50:51], v[36:37]
	v_add_f64 v[70:71], v[50:51], v[70:71]
	v_add_f64 v[66:67], v[50:51], v[66:67]
	v_add_f64 v[85:86], v[50:51], v[85:86]
	v_add_f64 v[74:75], v[50:51], v[74:75]
	v_add_f64 v[24:25], v[50:51], v[24:25]
	v_fma_f64 v[46:47], v[14:15], s[2:3], -v[46:47]
	v_fma_f64 v[50:51], v[14:15], s[16:17], v[93:94]
	v_add_f64 v[40:41], v[97:98], v[40:41]
	v_mul_f64 v[97:98], v[89:90], s[36:37]
	v_add_f64 v[16:17], v[44:45], v[16:17]
	v_add_f64 v[30:31], v[48:49], v[30:31]
	v_fma_f64 v[44:45], v[12:13], s[16:17], v[91:92]
	v_fma_f64 v[48:49], v[12:13], s[20:21], -v[95:96]
	v_mul_f64 v[91:92], v[87:88], s[34:35]
	v_add_f64 v[18:19], v[46:47], v[18:19]
	v_add_f64 v[32:33], v[50:51], v[32:33]
	v_fma_f64 v[46:47], v[14:15], s[16:17], -v[93:94]
	v_fma_f64 v[50:51], v[14:15], s[20:21], v[97:98]
	v_mul_f64 v[93:94], v[89:90], s[34:35]
	v_add_f64 v[34:35], v[44:45], v[34:35]
	v_add_f64 v[44:45], v[48:49], v[68:69]
	v_fma_f64 v[48:49], v[12:13], s[6:7], -v[91:92]
	v_fma_f64 v[68:69], v[12:13], s[6:7], v[91:92]
	v_mul_f64 v[87:88], v[87:88], s[26:27]
	v_add_f64 v[36:37], v[46:47], v[36:37]
	v_add_f64 v[46:47], v[50:51], v[70:71]
	v_fma_f64 v[50:51], v[14:15], s[6:7], v[93:94]
	v_fma_f64 v[70:71], v[14:15], s[6:7], -v[93:94]
	v_mul_f64 v[89:90], v[89:90], s[26:27]
	v_add_f64 v[48:49], v[48:49], v[83:84]
	v_add_f64 v[83:84], v[54:55], -v[6:7]
	v_add_f64 v[68:69], v[68:69], v[72:73]
	v_fma_f64 v[72:73], v[12:13], s[14:15], -v[87:88]
	v_fma_f64 v[95:96], v[12:13], s[20:21], v[95:96]
	v_add_f64 v[50:51], v[50:51], v[85:86]
	v_add_f64 v[85:86], v[52:53], -v[4:5]
	v_add_f64 v[4:5], v[52:53], v[4:5]
	v_add_f64 v[70:71], v[70:71], v[74:75]
	v_mul_f64 v[52:53], v[83:84], s[8:9]
	v_fma_f64 v[74:75], v[14:15], s[14:15], v[89:90]
	v_add_f64 v[6:7], v[54:55], v[6:7]
	v_fma_f64 v[12:13], v[12:13], s[14:15], v[87:88]
	v_add_f64 v[26:27], v[72:73], v[26:27]
	v_mul_f64 v[54:55], v[85:86], s[8:9]
	v_mul_f64 v[72:73], v[83:84], s[36:37]
	v_fma_f64 v[97:98], v[14:15], s[20:21], -v[97:98]
	v_fma_f64 v[87:88], v[4:5], s[6:7], -v[52:53]
	;; [unrolled: 1-line block ×3, first 2 shown]
	v_add_f64 v[28:29], v[74:75], v[28:29]
	v_mul_f64 v[74:75], v[85:86], s[36:37]
	v_add_f64 v[12:13], v[12:13], v[22:23]
	v_fma_f64 v[89:90], v[6:7], s[6:7], v[54:55]
	v_fma_f64 v[22:23], v[4:5], s[6:7], v[52:53]
	v_fma_f64 v[52:53], v[4:5], s[20:21], -v[72:73]
	v_add_f64 v[38:39], v[87:88], v[38:39]
	v_mul_f64 v[87:88], v[83:84], s[28:29]
	v_add_f64 v[14:15], v[14:15], v[24:25]
	v_fma_f64 v[24:25], v[6:7], s[6:7], -v[54:55]
	v_fma_f64 v[54:55], v[6:7], s[20:21], v[74:75]
	v_add_f64 v[40:41], v[89:90], v[40:41]
	v_mul_f64 v[89:90], v[85:86], s[28:29]
	v_add_f64 v[16:17], v[22:23], v[16:17]
	v_add_f64 v[22:23], v[52:53], v[30:31]
	v_fma_f64 v[30:31], v[4:5], s[20:21], v[72:73]
	v_fma_f64 v[52:53], v[4:5], s[2:3], -v[87:88]
	v_mul_f64 v[72:73], v[83:84], s[22:23]
	v_add_f64 v[18:19], v[24:25], v[18:19]
	v_add_f64 v[24:25], v[54:55], v[32:33]
	v_fma_f64 v[32:33], v[6:7], s[20:21], -v[74:75]
	v_fma_f64 v[54:55], v[6:7], s[2:3], v[89:90]
	v_mul_f64 v[74:75], v[85:86], s[22:23]
	v_add_f64 v[30:31], v[30:31], v[34:35]
	v_add_f64 v[34:35], v[52:53], v[44:45]
	v_fma_f64 v[44:45], v[4:5], s[14:15], -v[72:73]
	v_add_f64 v[66:67], v[97:98], v[66:67]
	v_fma_f64 v[89:90], v[6:7], s[2:3], -v[89:90]
	v_add_f64 v[32:33], v[32:33], v[36:37]
	v_add_f64 v[36:37], v[54:55], v[46:47]
	v_fma_f64 v[46:47], v[6:7], s[14:15], v[74:75]
	v_fma_f64 v[72:73], v[4:5], s[14:15], v[72:73]
	v_mul_f64 v[54:55], v[83:84], s[18:19]
	v_add_f64 v[44:45], v[44:45], v[48:49]
	v_add_f64 v[48:49], v[60:61], -v[10:11]
	v_add_f64 v[52:53], v[89:90], v[66:67]
	v_mul_f64 v[66:67], v[85:86], s[18:19]
	v_fma_f64 v[74:75], v[6:7], s[14:15], -v[74:75]
	v_add_f64 v[46:47], v[46:47], v[50:51]
	v_add_f64 v[50:51], v[56:57], -v[8:9]
	v_add_f64 v[8:9], v[56:57], v[8:9]
	v_add_f64 v[68:69], v[72:73], v[68:69]
	v_mul_f64 v[56:57], v[48:49], s[18:19]
	v_add_f64 v[10:11], v[60:61], v[10:11]
	v_add_f64 v[42:43], v[95:96], v[42:43]
	v_fma_f64 v[87:88], v[4:5], s[2:3], v[87:88]
	v_fma_f64 v[83:84], v[4:5], s[16:17], -v[54:55]
	v_mul_f64 v[60:61], v[50:51], s[18:19]
	v_fma_f64 v[85:86], v[6:7], s[16:17], v[66:67]
	v_add_f64 v[70:71], v[74:75], v[70:71]
	v_fma_f64 v[72:73], v[8:9], s[16:17], -v[56:57]
	v_fma_f64 v[56:57], v[8:9], s[16:17], v[56:57]
	v_fma_f64 v[4:5], v[4:5], s[16:17], v[54:55]
	v_fma_f64 v[6:7], v[6:7], s[16:17], -v[66:67]
	v_mul_f64 v[54:55], v[48:49], s[34:35]
	v_mul_f64 v[66:67], v[50:51], s[34:35]
	v_fma_f64 v[74:75], v[10:11], s[16:17], v[60:61]
	v_fma_f64 v[60:61], v[10:11], s[16:17], -v[60:61]
	v_add_f64 v[42:43], v[87:88], v[42:43]
	v_add_f64 v[16:17], v[56:57], v[16:17]
	v_mul_f64 v[56:57], v[48:49], s[22:23]
	v_add_f64 v[4:5], v[4:5], v[12:13]
	v_add_f64 v[6:7], v[6:7], v[14:15]
	v_fma_f64 v[12:13], v[8:9], s[6:7], -v[54:55]
	v_fma_f64 v[14:15], v[10:11], s[6:7], v[66:67]
	v_add_f64 v[38:39], v[72:73], v[38:39]
	v_add_f64 v[18:19], v[60:61], v[18:19]
	v_mul_f64 v[60:61], v[50:51], s[22:23]
	v_fma_f64 v[72:73], v[8:9], s[14:15], -v[56:57]
	v_fma_f64 v[56:57], v[8:9], s[14:15], v[56:57]
	v_fma_f64 v[54:55], v[8:9], s[6:7], v[54:55]
	v_add_f64 v[40:41], v[74:75], v[40:41]
	v_add_f64 v[12:13], v[12:13], v[22:23]
	;; [unrolled: 1-line block ×3, first 2 shown]
	v_mul_f64 v[22:23], v[48:49], s[24:25]
	v_mul_f64 v[24:25], v[50:51], s[24:25]
	v_fma_f64 v[74:75], v[10:11], s[14:15], v[60:61]
	v_fma_f64 v[60:61], v[10:11], s[14:15], -v[60:61]
	v_add_f64 v[42:43], v[56:57], v[42:43]
	v_add_f64 v[56:57], v[58:59], -v[64:65]
	v_mul_f64 v[48:49], v[48:49], s[28:29]
	v_fma_f64 v[66:67], v[10:11], s[6:7], -v[66:67]
	v_add_f64 v[30:31], v[54:55], v[30:31]
	v_add_f64 v[54:55], v[62:63], -v[20:21]
	v_mul_f64 v[50:51], v[50:51], s[28:29]
	v_add_f64 v[26:27], v[83:84], v[26:27]
	v_add_f64 v[28:29], v[85:86], v[28:29]
	v_fma_f64 v[85:86], v[10:11], s[20:21], v[24:25]
	v_add_f64 v[52:53], v[60:61], v[52:53]
	v_fma_f64 v[24:25], v[10:11], s[20:21], -v[24:25]
	v_add_f64 v[58:59], v[58:59], v[64:65]
	v_add_f64 v[60:61], v[62:63], v[20:21]
	v_mul_f64 v[62:63], v[56:57], s[24:25]
	v_fma_f64 v[64:65], v[8:9], s[2:3], -v[48:49]
	v_fma_f64 v[83:84], v[8:9], s[20:21], -v[22:23]
	v_add_f64 v[32:33], v[66:67], v[32:33]
	v_fma_f64 v[22:23], v[8:9], s[20:21], v[22:23]
	v_mul_f64 v[20:21], v[54:55], s[24:25]
	v_fma_f64 v[66:67], v[10:11], s[2:3], v[50:51]
	v_add_f64 v[70:71], v[24:25], v[70:71]
	v_fma_f64 v[8:9], v[8:9], s[2:3], v[48:49]
	v_fma_f64 v[10:11], v[10:11], s[2:3], -v[50:51]
	v_fma_f64 v[24:25], v[60:61], s[20:21], v[62:63]
	v_add_f64 v[48:49], v[64:65], v[26:27]
	v_mul_f64 v[26:27], v[54:55], s[26:27]
	v_add_f64 v[68:69], v[22:23], v[68:69]
	v_fma_f64 v[22:23], v[58:59], s[20:21], -v[20:21]
	v_add_f64 v[50:51], v[66:67], v[28:29]
	v_mul_f64 v[28:29], v[56:57], s[26:27]
	v_add_f64 v[64:65], v[8:9], v[4:5]
	v_add_f64 v[66:67], v[10:11], v[6:7]
	;; [unrolled: 1-line block ×3, first 2 shown]
	v_fma_f64 v[8:9], v[58:59], s[20:21], v[20:21]
	v_fma_f64 v[20:21], v[58:59], s[14:15], -v[26:27]
	v_mul_f64 v[24:25], v[54:55], s[18:19]
	v_add_f64 v[4:5], v[22:23], v[38:39]
	v_fma_f64 v[10:11], v[60:61], s[20:21], -v[62:63]
	v_fma_f64 v[22:23], v[60:61], s[14:15], v[28:29]
	v_mul_f64 v[38:39], v[56:57], s[18:19]
	v_fma_f64 v[26:27], v[58:59], s[14:15], v[26:27]
	v_fma_f64 v[28:29], v[60:61], s[14:15], -v[28:29]
	v_add_f64 v[34:35], v[72:73], v[34:35]
	v_add_f64 v[12:13], v[20:21], v[12:13]
	v_fma_f64 v[20:21], v[58:59], s[16:17], -v[24:25]
	v_add_f64 v[36:37], v[74:75], v[36:37]
	v_add_f64 v[8:9], v[8:9], v[16:17]
	;; [unrolled: 1-line block ×4, first 2 shown]
	v_fma_f64 v[22:23], v[60:61], s[16:17], v[38:39]
	v_add_f64 v[16:17], v[26:27], v[30:31]
	v_add_f64 v[18:19], v[28:29], v[32:33]
	v_mul_f64 v[28:29], v[54:55], s[28:29]
	v_mul_f64 v[30:31], v[56:57], s[28:29]
	v_fma_f64 v[26:27], v[60:61], s[16:17], -v[38:39]
	v_add_f64 v[20:21], v[20:21], v[34:35]
	v_mul_f64 v[32:33], v[54:55], s[8:9]
	v_mul_f64 v[34:35], v[56:57], s[8:9]
	v_fma_f64 v[24:25], v[58:59], s[16:17], v[24:25]
	v_add_f64 v[44:45], v[83:84], v[44:45]
	v_add_f64 v[46:47], v[85:86], v[46:47]
	;; [unrolled: 1-line block ×3, first 2 shown]
	v_fma_f64 v[36:37], v[58:59], s[2:3], -v[28:29]
	v_fma_f64 v[38:39], v[60:61], s[2:3], v[30:31]
	v_add_f64 v[26:27], v[26:27], v[52:53]
	v_fma_f64 v[52:53], v[58:59], s[6:7], -v[32:33]
	v_fma_f64 v[54:55], v[60:61], s[6:7], v[34:35]
	v_add_f64 v[24:25], v[24:25], v[42:43]
	v_fma_f64 v[40:41], v[58:59], s[2:3], v[28:29]
	v_fma_f64 v[42:43], v[60:61], s[2:3], -v[30:31]
	v_fma_f64 v[56:57], v[58:59], s[6:7], v[32:33]
	v_fma_f64 v[58:59], v[60:61], s[6:7], -v[34:35]
	v_add_f64 v[28:29], v[36:37], v[44:45]
	v_add_f64 v[30:31], v[38:39], v[46:47]
	;; [unrolled: 1-line block ×8, first 2 shown]
	ds_write_b128 v82, v[0:3]
	ds_write_b128 v82, v[4:7] offset:1760
	ds_write_b128 v82, v[12:15] offset:3520
	;; [unrolled: 1-line block ×10, first 2 shown]
	s_waitcnt lgkmcnt(0)
	s_barrier
	s_and_saveexec_b64 s[2:3], s[0:1]
	s_cbranch_execz .LBB0_29
; %bb.28:
	v_mul_lo_u32 v0, s5, v78
	v_mul_lo_u32 v1, s4, v79
	v_mad_u64_u32 v[4:5], s[0:1], s4, v78, 0
	v_mov_b32_e32 v6, s11
	v_lshl_add_u32 v10, v80, 4, 0
	v_add3_u32 v5, v5, v1, v0
	v_lshlrev_b64 v[4:5], 4, v[4:5]
	v_mov_b32_e32 v81, 0
	v_add_co_u32_e32 v7, vcc, s10, v4
	v_addc_co_u32_e32 v6, vcc, v6, v5, vcc
	v_lshlrev_b64 v[4:5], 4, v[76:77]
	ds_read_b128 v[0:3], v10
	v_add_co_u32_e32 v11, vcc, v7, v4
	v_addc_co_u32_e32 v12, vcc, v6, v5, vcc
	v_lshlrev_b64 v[4:5], 4, v[80:81]
	v_add_co_u32_e32 v8, vcc, v11, v4
	v_addc_co_u32_e32 v9, vcc, v12, v5, vcc
	ds_read_b128 v[4:7], v10 offset:1760
	s_waitcnt lgkmcnt(1)
	global_store_dwordx4 v[8:9], v[0:3], off
	s_nop 0
	v_add_u32_e32 v0, 0x6e, v80
	v_mov_b32_e32 v1, v81
	v_lshlrev_b64 v[0:1], 4, v[0:1]
	v_add_co_u32_e32 v0, vcc, v11, v0
	v_addc_co_u32_e32 v1, vcc, v12, v1, vcc
	s_waitcnt lgkmcnt(0)
	global_store_dwordx4 v[0:1], v[4:7], off
	ds_read_b128 v[0:3], v10 offset:3520
	v_add_u32_e32 v4, 0xdc, v80
	v_mov_b32_e32 v5, v81
	v_lshlrev_b64 v[4:5], 4, v[4:5]
	v_add_co_u32_e32 v8, vcc, v11, v4
	v_addc_co_u32_e32 v9, vcc, v12, v5, vcc
	ds_read_b128 v[4:7], v10 offset:5280
	s_waitcnt lgkmcnt(1)
	global_store_dwordx4 v[8:9], v[0:3], off
	s_nop 0
	v_add_u32_e32 v0, 0x14a, v80
	v_mov_b32_e32 v1, v81
	v_lshlrev_b64 v[0:1], 4, v[0:1]
	v_add_co_u32_e32 v0, vcc, v11, v0
	v_addc_co_u32_e32 v1, vcc, v12, v1, vcc
	s_waitcnt lgkmcnt(0)
	global_store_dwordx4 v[0:1], v[4:7], off
	ds_read_b128 v[0:3], v10 offset:7040
	v_add_u32_e32 v4, 0x1b8, v80
	v_mov_b32_e32 v5, v81
	;; [unrolled: 17-line block ×4, first 2 shown]
	v_lshlrev_b64 v[4:5], 4, v[4:5]
	v_add_co_u32_e32 v8, vcc, v11, v4
	v_addc_co_u32_e32 v9, vcc, v12, v5, vcc
	ds_read_b128 v[4:7], v10 offset:15840
	s_waitcnt lgkmcnt(1)
	global_store_dwordx4 v[8:9], v[0:3], off
	s_nop 0
	v_add_u32_e32 v0, 0x3de, v80
	v_mov_b32_e32 v1, v81
	v_lshlrev_b64 v[0:1], 4, v[0:1]
	v_add_u32_e32 v80, 0x44c, v80
	v_add_co_u32_e32 v0, vcc, v11, v0
	v_addc_co_u32_e32 v1, vcc, v12, v1, vcc
	s_waitcnt lgkmcnt(0)
	global_store_dwordx4 v[0:1], v[4:7], off
	ds_read_b128 v[0:3], v10 offset:17600
	v_lshlrev_b64 v[4:5], 4, v[80:81]
	v_add_co_u32_e32 v4, vcc, v11, v4
	v_addc_co_u32_e32 v5, vcc, v12, v5, vcc
	s_waitcnt lgkmcnt(0)
	global_store_dwordx4 v[4:5], v[0:3], off
.LBB0_29:
	s_endpgm
	.section	.rodata,"a",@progbits
	.p2align	6, 0x0
	.amdhsa_kernel fft_rtc_fwd_len1210_factors_2_5_11_11_wgs_110_tpt_110_halfLds_dp_op_CI_CI_unitstride_sbrr_C2R_dirReg
		.amdhsa_group_segment_fixed_size 0
		.amdhsa_private_segment_fixed_size 0
		.amdhsa_kernarg_size 104
		.amdhsa_user_sgpr_count 6
		.amdhsa_user_sgpr_private_segment_buffer 1
		.amdhsa_user_sgpr_dispatch_ptr 0
		.amdhsa_user_sgpr_queue_ptr 0
		.amdhsa_user_sgpr_kernarg_segment_ptr 1
		.amdhsa_user_sgpr_dispatch_id 0
		.amdhsa_user_sgpr_flat_scratch_init 0
		.amdhsa_user_sgpr_private_segment_size 0
		.amdhsa_uses_dynamic_stack 0
		.amdhsa_system_sgpr_private_segment_wavefront_offset 0
		.amdhsa_system_sgpr_workgroup_id_x 1
		.amdhsa_system_sgpr_workgroup_id_y 0
		.amdhsa_system_sgpr_workgroup_id_z 0
		.amdhsa_system_sgpr_workgroup_info 0
		.amdhsa_system_vgpr_workitem_id 0
		.amdhsa_next_free_vgpr 113
		.amdhsa_next_free_sgpr 38
		.amdhsa_reserve_vcc 1
		.amdhsa_reserve_flat_scratch 0
		.amdhsa_float_round_mode_32 0
		.amdhsa_float_round_mode_16_64 0
		.amdhsa_float_denorm_mode_32 3
		.amdhsa_float_denorm_mode_16_64 3
		.amdhsa_dx10_clamp 1
		.amdhsa_ieee_mode 1
		.amdhsa_fp16_overflow 0
		.amdhsa_exception_fp_ieee_invalid_op 0
		.amdhsa_exception_fp_denorm_src 0
		.amdhsa_exception_fp_ieee_div_zero 0
		.amdhsa_exception_fp_ieee_overflow 0
		.amdhsa_exception_fp_ieee_underflow 0
		.amdhsa_exception_fp_ieee_inexact 0
		.amdhsa_exception_int_div_zero 0
	.end_amdhsa_kernel
	.text
.Lfunc_end0:
	.size	fft_rtc_fwd_len1210_factors_2_5_11_11_wgs_110_tpt_110_halfLds_dp_op_CI_CI_unitstride_sbrr_C2R_dirReg, .Lfunc_end0-fft_rtc_fwd_len1210_factors_2_5_11_11_wgs_110_tpt_110_halfLds_dp_op_CI_CI_unitstride_sbrr_C2R_dirReg
                                        ; -- End function
	.section	.AMDGPU.csdata,"",@progbits
; Kernel info:
; codeLenInByte = 12192
; NumSgprs: 42
; NumVgprs: 113
; ScratchSize: 0
; MemoryBound: 0
; FloatMode: 240
; IeeeMode: 1
; LDSByteSize: 0 bytes/workgroup (compile time only)
; SGPRBlocks: 5
; VGPRBlocks: 28
; NumSGPRsForWavesPerEU: 42
; NumVGPRsForWavesPerEU: 113
; Occupancy: 2
; WaveLimiterHint : 1
; COMPUTE_PGM_RSRC2:SCRATCH_EN: 0
; COMPUTE_PGM_RSRC2:USER_SGPR: 6
; COMPUTE_PGM_RSRC2:TRAP_HANDLER: 0
; COMPUTE_PGM_RSRC2:TGID_X_EN: 1
; COMPUTE_PGM_RSRC2:TGID_Y_EN: 0
; COMPUTE_PGM_RSRC2:TGID_Z_EN: 0
; COMPUTE_PGM_RSRC2:TIDIG_COMP_CNT: 0
	.type	__hip_cuid_9add0d9c775ebfbb,@object ; @__hip_cuid_9add0d9c775ebfbb
	.section	.bss,"aw",@nobits
	.globl	__hip_cuid_9add0d9c775ebfbb
__hip_cuid_9add0d9c775ebfbb:
	.byte	0                               ; 0x0
	.size	__hip_cuid_9add0d9c775ebfbb, 1

	.ident	"AMD clang version 19.0.0git (https://github.com/RadeonOpenCompute/llvm-project roc-6.4.0 25133 c7fe45cf4b819c5991fe208aaa96edf142730f1d)"
	.section	".note.GNU-stack","",@progbits
	.addrsig
	.addrsig_sym __hip_cuid_9add0d9c775ebfbb
	.amdgpu_metadata
---
amdhsa.kernels:
  - .args:
      - .actual_access:  read_only
        .address_space:  global
        .offset:         0
        .size:           8
        .value_kind:     global_buffer
      - .offset:         8
        .size:           8
        .value_kind:     by_value
      - .actual_access:  read_only
        .address_space:  global
        .offset:         16
        .size:           8
        .value_kind:     global_buffer
      - .actual_access:  read_only
        .address_space:  global
        .offset:         24
        .size:           8
        .value_kind:     global_buffer
      - .actual_access:  read_only
        .address_space:  global
        .offset:         32
        .size:           8
        .value_kind:     global_buffer
      - .offset:         40
        .size:           8
        .value_kind:     by_value
      - .actual_access:  read_only
        .address_space:  global
        .offset:         48
        .size:           8
        .value_kind:     global_buffer
      - .actual_access:  read_only
        .address_space:  global
        .offset:         56
        .size:           8
        .value_kind:     global_buffer
      - .offset:         64
        .size:           4
        .value_kind:     by_value
      - .actual_access:  read_only
        .address_space:  global
        .offset:         72
        .size:           8
        .value_kind:     global_buffer
      - .actual_access:  read_only
        .address_space:  global
        .offset:         80
        .size:           8
        .value_kind:     global_buffer
      - .actual_access:  read_only
        .address_space:  global
        .offset:         88
        .size:           8
        .value_kind:     global_buffer
      - .actual_access:  write_only
        .address_space:  global
        .offset:         96
        .size:           8
        .value_kind:     global_buffer
    .group_segment_fixed_size: 0
    .kernarg_segment_align: 8
    .kernarg_segment_size: 104
    .language:       OpenCL C
    .language_version:
      - 2
      - 0
    .max_flat_workgroup_size: 110
    .name:           fft_rtc_fwd_len1210_factors_2_5_11_11_wgs_110_tpt_110_halfLds_dp_op_CI_CI_unitstride_sbrr_C2R_dirReg
    .private_segment_fixed_size: 0
    .sgpr_count:     42
    .sgpr_spill_count: 0
    .symbol:         fft_rtc_fwd_len1210_factors_2_5_11_11_wgs_110_tpt_110_halfLds_dp_op_CI_CI_unitstride_sbrr_C2R_dirReg.kd
    .uniform_work_group_size: 1
    .uses_dynamic_stack: false
    .vgpr_count:     113
    .vgpr_spill_count: 0
    .wavefront_size: 64
amdhsa.target:   amdgcn-amd-amdhsa--gfx906
amdhsa.version:
  - 1
  - 2
...

	.end_amdgpu_metadata
